;; amdgpu-corpus repo=ROCm/rocBLAS kind=compiled arch=gfx1250 opt=O3
	.amdgcn_target "amdgcn-amd-amdhsa--gfx1250"
	.amdhsa_code_object_version 6
	.section	.text._ZL18rocblas_rot_kernelIiLi512EfPfS0_PKfS2_EviT2_lllT3_lllT4_lT5_li,"axG",@progbits,_ZL18rocblas_rot_kernelIiLi512EfPfS0_PKfS2_EviT2_lllT3_lllT4_lT5_li,comdat
	.globl	_ZL18rocblas_rot_kernelIiLi512EfPfS0_PKfS2_EviT2_lllT3_lllT4_lT5_li ; -- Begin function _ZL18rocblas_rot_kernelIiLi512EfPfS0_PKfS2_EviT2_lllT3_lllT4_lT5_li
	.p2align	8
	.type	_ZL18rocblas_rot_kernelIiLi512EfPfS0_PKfS2_EviT2_lllT3_lllT4_lT5_li,@function
_ZL18rocblas_rot_kernelIiLi512EfPfS0_PKfS2_EviT2_lllT3_lllT4_lT5_li: ; @_ZL18rocblas_rot_kernelIiLi512EfPfS0_PKfS2_EviT2_lllT3_lllT4_lT5_li
; %bb.0:
	s_load_b32 s28, s[0:1], 0x68
	s_bfe_u32 s2, ttmp6, 0x40014
	s_lshr_b32 s3, ttmp7, 16
	s_add_co_i32 s2, s2, 1
	s_bfe_u32 s4, ttmp6, 0x40008
	s_mul_i32 s2, s3, s2
	s_getreg_b32 s20, hwreg(HW_REG_IB_STS2, 6, 4)
	s_add_co_i32 s4, s4, s2
	s_cmp_eq_u32 s20, 0
	s_cselect_b32 s2, s3, s4
	s_mov_b32 s3, 0
	s_wait_kmcnt 0x0
	s_cmp_ge_u32 s2, s28
	s_cbranch_scc1 .LBB0_5
; %bb.1:
	s_clause 0x2
	s_load_b32 s30, s[0:1], 0x0
	s_load_b512 s[4:19], s[0:1], 0x8
	s_load_b32 s21, s[0:1], 0x7c
	s_bfe_u32 s22, ttmp6, 0x4000c
	s_and_b32 s23, ttmp6, 15
	s_add_co_i32 s22, s22, 1
	v_mov_b32_e32 v1, 0
	s_mul_i32 s22, ttmp9, s22
	s_delay_alu instid0(SALU_CYCLE_1)
	s_add_co_i32 s23, s23, s22
	s_wait_kmcnt 0x0
	s_ashr_i32 s31, s30, 31
	s_lshl_b64 s[6:7], s[6:7], 2
	s_lshl_b64 s[14:15], s[14:15], 2
	s_and_b32 s21, s21, 0xffff
	s_cmp_eq_u32 s20, 0
	s_cselect_b32 s20, ttmp9, s23
	s_delay_alu instid0(SALU_CYCLE_1) | instskip(SKIP_4) | instid1(VALU_DEP_1)
	v_mad_u32 v0, s20, s21, v0
	s_load_b256 s[20:27], s[0:1], 0x48
	s_wait_xcnt 0x0
	s_add_nc_u64 s[0:1], s[4:5], s[6:7]
	s_add_nc_u64 s[4:5], s[12:13], s[14:15]
	v_mul_u64_e32 v[2:3], s[8:9], v[0:1]
	v_mul_u64_e32 v[4:5], s[16:17], v[0:1]
	v_cmp_gt_i64_e32 vcc_lo, s[30:31], v[0:1]
	s_delay_alu instid0(VALU_DEP_3) | instskip(NEXT) | instid1(VALU_DEP_3)
	v_lshl_add_u64 v[2:3], v[2:3], 2, s[0:1]
	v_lshl_add_u64 v[4:5], v[4:5], 2, s[4:5]
	s_branch .LBB0_3
.LBB0_2:                                ;   in Loop: Header=BB0_3 Depth=1
	s_wait_xcnt 0x0
	s_or_b32 exec_lo, exec_lo, s0
	s_add_co_i32 s2, s2, 0x10000
	s_delay_alu instid0(SALU_CYCLE_1)
	s_cmp_lt_u32 s2, s28
	s_cbranch_scc0 .LBB0_5
.LBB0_3:                                ; =>This Inner Loop Header: Depth=1
	s_and_saveexec_b32 s0, vcc_lo
	s_cbranch_execz .LBB0_2
; %bb.4:                                ;   in Loop: Header=BB0_3 Depth=1
	s_mul_u64 s[4:5], s[18:19], s[2:3]
	s_mul_u64 s[6:7], s[10:11], s[2:3]
	v_lshl_add_u64 v[6:7], s[4:5], 2, v[4:5]
	v_lshl_add_u64 v[8:9], s[6:7], 2, v[2:3]
	s_wait_kmcnt 0x0
	s_mul_u64 s[4:5], s[26:27], s[2:3]
	s_mul_u64 s[6:7], s[22:23], s[2:3]
	s_lshl_b64 s[4:5], s[4:5], 2
	global_load_b32 v11, v[6:7], off
	global_load_b32 v10, v[8:9], off
	s_lshl_b64 s[6:7], s[6:7], 2
	s_add_nc_u64 s[4:5], s[24:25], s[4:5]
	s_add_nc_u64 s[6:7], s[20:21], s[6:7]
	s_clause 0x1
	global_load_b32 v13, v1, s[4:5]
	global_load_b32 v12, v1, s[6:7]
	s_wait_loadcnt 0x2
	v_dual_mov_b32 v14, v11 :: v_dual_mov_b32 v15, v10
	s_wait_loadcnt 0x0
	v_pk_mul_f32 v[10:11], v[12:13], v[10:11]
	s_delay_alu instid0(VALU_DEP_2) | instskip(NEXT) | instid1(VALU_DEP_2)
	v_pk_mul_f32 v[14:15], v[12:13], v[14:15]
	v_add_f32_e32 v10, v10, v11
	s_delay_alu instid0(VALU_DEP_2)
	v_sub_f32_e32 v0, v14, v15
	global_store_b32 v[6:7], v0, off
	global_store_b32 v[8:9], v10, off
	s_branch .LBB0_2
.LBB0_5:
	s_endpgm
	.section	.rodata,"a",@progbits
	.p2align	6, 0x0
	.amdhsa_kernel _ZL18rocblas_rot_kernelIiLi512EfPfS0_PKfS2_EviT2_lllT3_lllT4_lT5_li
		.amdhsa_group_segment_fixed_size 0
		.amdhsa_private_segment_fixed_size 0
		.amdhsa_kernarg_size 368
		.amdhsa_user_sgpr_count 2
		.amdhsa_user_sgpr_dispatch_ptr 0
		.amdhsa_user_sgpr_queue_ptr 0
		.amdhsa_user_sgpr_kernarg_segment_ptr 1
		.amdhsa_user_sgpr_dispatch_id 0
		.amdhsa_user_sgpr_kernarg_preload_length 0
		.amdhsa_user_sgpr_kernarg_preload_offset 0
		.amdhsa_user_sgpr_private_segment_size 0
		.amdhsa_wavefront_size32 1
		.amdhsa_uses_dynamic_stack 0
		.amdhsa_enable_private_segment 0
		.amdhsa_system_sgpr_workgroup_id_x 1
		.amdhsa_system_sgpr_workgroup_id_y 0
		.amdhsa_system_sgpr_workgroup_id_z 1
		.amdhsa_system_sgpr_workgroup_info 0
		.amdhsa_system_vgpr_workitem_id 0
		.amdhsa_next_free_vgpr 16
		.amdhsa_next_free_sgpr 32
		.amdhsa_named_barrier_count 0
		.amdhsa_reserve_vcc 1
		.amdhsa_float_round_mode_32 0
		.amdhsa_float_round_mode_16_64 0
		.amdhsa_float_denorm_mode_32 3
		.amdhsa_float_denorm_mode_16_64 3
		.amdhsa_fp16_overflow 0
		.amdhsa_memory_ordered 1
		.amdhsa_forward_progress 1
		.amdhsa_inst_pref_size 4
		.amdhsa_round_robin_scheduling 0
		.amdhsa_exception_fp_ieee_invalid_op 0
		.amdhsa_exception_fp_denorm_src 0
		.amdhsa_exception_fp_ieee_div_zero 0
		.amdhsa_exception_fp_ieee_overflow 0
		.amdhsa_exception_fp_ieee_underflow 0
		.amdhsa_exception_fp_ieee_inexact 0
		.amdhsa_exception_int_div_zero 0
	.end_amdhsa_kernel
	.section	.text._ZL18rocblas_rot_kernelIiLi512EfPfS0_PKfS2_EviT2_lllT3_lllT4_lT5_li,"axG",@progbits,_ZL18rocblas_rot_kernelIiLi512EfPfS0_PKfS2_EviT2_lllT3_lllT4_lT5_li,comdat
.Lfunc_end0:
	.size	_ZL18rocblas_rot_kernelIiLi512EfPfS0_PKfS2_EviT2_lllT3_lllT4_lT5_li, .Lfunc_end0-_ZL18rocblas_rot_kernelIiLi512EfPfS0_PKfS2_EviT2_lllT3_lllT4_lT5_li
                                        ; -- End function
	.set _ZL18rocblas_rot_kernelIiLi512EfPfS0_PKfS2_EviT2_lllT3_lllT4_lT5_li.num_vgpr, 16
	.set _ZL18rocblas_rot_kernelIiLi512EfPfS0_PKfS2_EviT2_lllT3_lllT4_lT5_li.num_agpr, 0
	.set _ZL18rocblas_rot_kernelIiLi512EfPfS0_PKfS2_EviT2_lllT3_lllT4_lT5_li.numbered_sgpr, 32
	.set _ZL18rocblas_rot_kernelIiLi512EfPfS0_PKfS2_EviT2_lllT3_lllT4_lT5_li.num_named_barrier, 0
	.set _ZL18rocblas_rot_kernelIiLi512EfPfS0_PKfS2_EviT2_lllT3_lllT4_lT5_li.private_seg_size, 0
	.set _ZL18rocblas_rot_kernelIiLi512EfPfS0_PKfS2_EviT2_lllT3_lllT4_lT5_li.uses_vcc, 1
	.set _ZL18rocblas_rot_kernelIiLi512EfPfS0_PKfS2_EviT2_lllT3_lllT4_lT5_li.uses_flat_scratch, 0
	.set _ZL18rocblas_rot_kernelIiLi512EfPfS0_PKfS2_EviT2_lllT3_lllT4_lT5_li.has_dyn_sized_stack, 0
	.set _ZL18rocblas_rot_kernelIiLi512EfPfS0_PKfS2_EviT2_lllT3_lllT4_lT5_li.has_recursion, 0
	.set _ZL18rocblas_rot_kernelIiLi512EfPfS0_PKfS2_EviT2_lllT3_lllT4_lT5_li.has_indirect_call, 0
	.section	.AMDGPU.csdata,"",@progbits
; Kernel info:
; codeLenInByte = 448
; TotalNumSgprs: 34
; NumVgprs: 16
; ScratchSize: 0
; MemoryBound: 0
; FloatMode: 240
; IeeeMode: 1
; LDSByteSize: 0 bytes/workgroup (compile time only)
; SGPRBlocks: 0
; VGPRBlocks: 0
; NumSGPRsForWavesPerEU: 34
; NumVGPRsForWavesPerEU: 16
; NamedBarCnt: 0
; Occupancy: 16
; WaveLimiterHint : 0
; COMPUTE_PGM_RSRC2:SCRATCH_EN: 0
; COMPUTE_PGM_RSRC2:USER_SGPR: 2
; COMPUTE_PGM_RSRC2:TRAP_HANDLER: 0
; COMPUTE_PGM_RSRC2:TGID_X_EN: 1
; COMPUTE_PGM_RSRC2:TGID_Y_EN: 0
; COMPUTE_PGM_RSRC2:TGID_Z_EN: 1
; COMPUTE_PGM_RSRC2:TIDIG_COMP_CNT: 0
	.section	.text._ZL18rocblas_rot_kernelIiLi512EfPfS0_ffEviT2_lllT3_lllT4_lT5_li,"axG",@progbits,_ZL18rocblas_rot_kernelIiLi512EfPfS0_ffEviT2_lllT3_lllT4_lT5_li,comdat
	.globl	_ZL18rocblas_rot_kernelIiLi512EfPfS0_ffEviT2_lllT3_lllT4_lT5_li ; -- Begin function _ZL18rocblas_rot_kernelIiLi512EfPfS0_ffEviT2_lllT3_lllT4_lT5_li
	.p2align	8
	.type	_ZL18rocblas_rot_kernelIiLi512EfPfS0_ffEviT2_lllT3_lllT4_lT5_li,@function
_ZL18rocblas_rot_kernelIiLi512EfPfS0_ffEviT2_lllT3_lllT4_lT5_li: ; @_ZL18rocblas_rot_kernelIiLi512EfPfS0_ffEviT2_lllT3_lllT4_lT5_li
; %bb.0:
	s_load_b32 s20, s[0:1], 0x68
	s_bfe_u32 s2, ttmp6, 0x40014
	s_lshr_b32 s3, ttmp7, 16
	s_add_co_i32 s2, s2, 1
	s_bfe_u32 s4, ttmp6, 0x40008
	s_mul_i32 s2, s3, s2
	s_getreg_b32 s21, hwreg(HW_REG_IB_STS2, 6, 4)
	s_add_co_i32 s4, s4, s2
	s_cmp_eq_u32 s21, 0
	s_cselect_b32 s2, s3, s4
	s_mov_b32 s3, 0
	s_wait_kmcnt 0x0
	s_cmp_ge_u32 s2, s20
	s_cbranch_scc1 .LBB1_5
; %bb.1:
	s_clause 0x2
	s_load_b32 s22, s[0:1], 0x0
	s_load_b512 s[4:19], s[0:1], 0x8
	s_load_b32 s26, s[0:1], 0x7c
	s_bfe_u32 s23, ttmp6, 0x4000c
	s_and_b32 s24, ttmp6, 15
	s_add_co_i32 s23, s23, 1
	v_mov_b32_e32 v1, 0
	s_mul_i32 s23, ttmp9, s23
	s_delay_alu instid0(SALU_CYCLE_1)
	s_add_co_i32 s27, s24, s23
	s_wait_kmcnt 0x0
	s_ashr_i32 s23, s22, 31
	s_lshl_b64 s[24:25], s[6:7], 2
	s_lshl_b64 s[14:15], s[14:15], 2
	s_and_b32 s6, s26, 0xffff
	s_cmp_eq_u32 s21, 0
	s_cselect_b32 s7, ttmp9, s27
	s_delay_alu instid0(SALU_CYCLE_1)
	v_mad_u32 v0, s7, s6, v0
	s_clause 0x1
	s_load_b32 s6, s[0:1], 0x48
	s_load_b32 s7, s[0:1], 0x58
	s_wait_xcnt 0x0
	s_add_nc_u64 s[0:1], s[4:5], s[24:25]
	s_add_nc_u64 s[4:5], s[12:13], s[14:15]
	s_delay_alu instid0(VALU_DEP_1) | instskip(SKIP_2) | instid1(VALU_DEP_3)
	v_mul_u64_e32 v[2:3], s[8:9], v[0:1]
	v_mul_u64_e32 v[4:5], s[16:17], v[0:1]
	v_cmp_gt_i64_e32 vcc_lo, s[22:23], v[0:1]
	v_lshl_add_u64 v[0:1], v[2:3], 2, s[0:1]
	s_delay_alu instid0(VALU_DEP_3)
	v_lshl_add_u64 v[2:3], v[4:5], 2, s[4:5]
	s_branch .LBB1_3
.LBB1_2:                                ;   in Loop: Header=BB1_3 Depth=1
	s_wait_xcnt 0x0
	s_or_b32 exec_lo, exec_lo, s0
	s_add_co_i32 s2, s2, 0x10000
	s_delay_alu instid0(SALU_CYCLE_1)
	s_cmp_lt_u32 s2, s20
	s_cbranch_scc0 .LBB1_5
.LBB1_3:                                ; =>This Inner Loop Header: Depth=1
	s_and_saveexec_b32 s0, vcc_lo
	s_cbranch_execz .LBB1_2
; %bb.4:                                ;   in Loop: Header=BB1_3 Depth=1
	s_mul_u64 s[4:5], s[18:19], s[2:3]
	s_mul_u64 s[8:9], s[10:11], s[2:3]
	v_lshl_add_u64 v[4:5], s[4:5], 2, v[2:3]
	v_lshl_add_u64 v[6:7], s[8:9], 2, v[0:1]
	s_wait_kmcnt 0x0
	v_mov_b64_e32 v[10:11], s[6:7]
	global_load_b32 v9, v[4:5], off
	global_load_b32 v8, v[6:7], off
	s_wait_loadcnt 0x0
	v_dual_mov_b32 v12, v9 :: v_dual_mov_b32 v13, v8
	v_pk_mul_f32 v[8:9], v[10:11], v[8:9]
	s_delay_alu instid0(VALU_DEP_2) | instskip(NEXT) | instid1(VALU_DEP_2)
	v_pk_mul_f32 v[12:13], v[10:11], v[12:13]
	v_add_f32_e32 v8, v8, v9
	s_delay_alu instid0(VALU_DEP_2)
	v_sub_f32_e32 v10, v12, v13
	global_store_b32 v[4:5], v10, off
	global_store_b32 v[6:7], v8, off
	s_branch .LBB1_2
.LBB1_5:
	s_endpgm
	.section	.rodata,"a",@progbits
	.p2align	6, 0x0
	.amdhsa_kernel _ZL18rocblas_rot_kernelIiLi512EfPfS0_ffEviT2_lllT3_lllT4_lT5_li
		.amdhsa_group_segment_fixed_size 0
		.amdhsa_private_segment_fixed_size 0
		.amdhsa_kernarg_size 368
		.amdhsa_user_sgpr_count 2
		.amdhsa_user_sgpr_dispatch_ptr 0
		.amdhsa_user_sgpr_queue_ptr 0
		.amdhsa_user_sgpr_kernarg_segment_ptr 1
		.amdhsa_user_sgpr_dispatch_id 0
		.amdhsa_user_sgpr_kernarg_preload_length 0
		.amdhsa_user_sgpr_kernarg_preload_offset 0
		.amdhsa_user_sgpr_private_segment_size 0
		.amdhsa_wavefront_size32 1
		.amdhsa_uses_dynamic_stack 0
		.amdhsa_enable_private_segment 0
		.amdhsa_system_sgpr_workgroup_id_x 1
		.amdhsa_system_sgpr_workgroup_id_y 0
		.amdhsa_system_sgpr_workgroup_id_z 1
		.amdhsa_system_sgpr_workgroup_info 0
		.amdhsa_system_vgpr_workitem_id 0
		.amdhsa_next_free_vgpr 14
		.amdhsa_next_free_sgpr 28
		.amdhsa_named_barrier_count 0
		.amdhsa_reserve_vcc 1
		.amdhsa_float_round_mode_32 0
		.amdhsa_float_round_mode_16_64 0
		.amdhsa_float_denorm_mode_32 3
		.amdhsa_float_denorm_mode_16_64 3
		.amdhsa_fp16_overflow 0
		.amdhsa_memory_ordered 1
		.amdhsa_forward_progress 1
		.amdhsa_inst_pref_size 4
		.amdhsa_round_robin_scheduling 0
		.amdhsa_exception_fp_ieee_invalid_op 0
		.amdhsa_exception_fp_denorm_src 0
		.amdhsa_exception_fp_ieee_div_zero 0
		.amdhsa_exception_fp_ieee_overflow 0
		.amdhsa_exception_fp_ieee_underflow 0
		.amdhsa_exception_fp_ieee_inexact 0
		.amdhsa_exception_int_div_zero 0
	.end_amdhsa_kernel
	.section	.text._ZL18rocblas_rot_kernelIiLi512EfPfS0_ffEviT2_lllT3_lllT4_lT5_li,"axG",@progbits,_ZL18rocblas_rot_kernelIiLi512EfPfS0_ffEviT2_lllT3_lllT4_lT5_li,comdat
.Lfunc_end1:
	.size	_ZL18rocblas_rot_kernelIiLi512EfPfS0_ffEviT2_lllT3_lllT4_lT5_li, .Lfunc_end1-_ZL18rocblas_rot_kernelIiLi512EfPfS0_ffEviT2_lllT3_lllT4_lT5_li
                                        ; -- End function
	.set _ZL18rocblas_rot_kernelIiLi512EfPfS0_ffEviT2_lllT3_lllT4_lT5_li.num_vgpr, 14
	.set _ZL18rocblas_rot_kernelIiLi512EfPfS0_ffEviT2_lllT3_lllT4_lT5_li.num_agpr, 0
	.set _ZL18rocblas_rot_kernelIiLi512EfPfS0_ffEviT2_lllT3_lllT4_lT5_li.numbered_sgpr, 28
	.set _ZL18rocblas_rot_kernelIiLi512EfPfS0_ffEviT2_lllT3_lllT4_lT5_li.num_named_barrier, 0
	.set _ZL18rocblas_rot_kernelIiLi512EfPfS0_ffEviT2_lllT3_lllT4_lT5_li.private_seg_size, 0
	.set _ZL18rocblas_rot_kernelIiLi512EfPfS0_ffEviT2_lllT3_lllT4_lT5_li.uses_vcc, 1
	.set _ZL18rocblas_rot_kernelIiLi512EfPfS0_ffEviT2_lllT3_lllT4_lT5_li.uses_flat_scratch, 0
	.set _ZL18rocblas_rot_kernelIiLi512EfPfS0_ffEviT2_lllT3_lllT4_lT5_li.has_dyn_sized_stack, 0
	.set _ZL18rocblas_rot_kernelIiLi512EfPfS0_ffEviT2_lllT3_lllT4_lT5_li.has_recursion, 0
	.set _ZL18rocblas_rot_kernelIiLi512EfPfS0_ffEviT2_lllT3_lllT4_lT5_li.has_indirect_call, 0
	.section	.AMDGPU.csdata,"",@progbits
; Kernel info:
; codeLenInByte = 412
; TotalNumSgprs: 30
; NumVgprs: 14
; ScratchSize: 0
; MemoryBound: 0
; FloatMode: 240
; IeeeMode: 1
; LDSByteSize: 0 bytes/workgroup (compile time only)
; SGPRBlocks: 0
; VGPRBlocks: 0
; NumSGPRsForWavesPerEU: 30
; NumVGPRsForWavesPerEU: 14
; NamedBarCnt: 0
; Occupancy: 16
; WaveLimiterHint : 0
; COMPUTE_PGM_RSRC2:SCRATCH_EN: 0
; COMPUTE_PGM_RSRC2:USER_SGPR: 2
; COMPUTE_PGM_RSRC2:TRAP_HANDLER: 0
; COMPUTE_PGM_RSRC2:TGID_X_EN: 1
; COMPUTE_PGM_RSRC2:TGID_Y_EN: 0
; COMPUTE_PGM_RSRC2:TGID_Z_EN: 1
; COMPUTE_PGM_RSRC2:TIDIG_COMP_CNT: 0
	.section	.text._ZL18rocblas_rot_kernelIiLi512EdPdS0_PKdS2_EviT2_lllT3_lllT4_lT5_li,"axG",@progbits,_ZL18rocblas_rot_kernelIiLi512EdPdS0_PKdS2_EviT2_lllT3_lllT4_lT5_li,comdat
	.globl	_ZL18rocblas_rot_kernelIiLi512EdPdS0_PKdS2_EviT2_lllT3_lllT4_lT5_li ; -- Begin function _ZL18rocblas_rot_kernelIiLi512EdPdS0_PKdS2_EviT2_lllT3_lllT4_lT5_li
	.p2align	8
	.type	_ZL18rocblas_rot_kernelIiLi512EdPdS0_PKdS2_EviT2_lllT3_lllT4_lT5_li,@function
_ZL18rocblas_rot_kernelIiLi512EdPdS0_PKdS2_EviT2_lllT3_lllT4_lT5_li: ; @_ZL18rocblas_rot_kernelIiLi512EdPdS0_PKdS2_EviT2_lllT3_lllT4_lT5_li
; %bb.0:
	s_load_b32 s28, s[0:1], 0x68
	s_bfe_u32 s2, ttmp6, 0x40014
	s_lshr_b32 s3, ttmp7, 16
	s_add_co_i32 s2, s2, 1
	s_bfe_u32 s4, ttmp6, 0x40008
	s_mul_i32 s2, s3, s2
	s_getreg_b32 s20, hwreg(HW_REG_IB_STS2, 6, 4)
	s_add_co_i32 s4, s4, s2
	s_cmp_eq_u32 s20, 0
	s_cselect_b32 s2, s3, s4
	s_mov_b32 s3, 0
	s_wait_kmcnt 0x0
	s_cmp_ge_u32 s2, s28
	s_cbranch_scc1 .LBB2_5
; %bb.1:
	s_clause 0x2
	s_load_b32 s30, s[0:1], 0x0
	s_load_b512 s[4:19], s[0:1], 0x8
	s_load_b32 s21, s[0:1], 0x7c
	s_bfe_u32 s22, ttmp6, 0x4000c
	s_and_b32 s23, ttmp6, 15
	s_add_co_i32 s22, s22, 1
	v_mov_b32_e32 v1, 0
	s_mul_i32 s22, ttmp9, s22
	s_delay_alu instid0(SALU_CYCLE_1)
	s_add_co_i32 s23, s23, s22
	s_wait_kmcnt 0x0
	s_ashr_i32 s31, s30, 31
	s_lshl_b64 s[6:7], s[6:7], 3
	s_lshl_b64 s[14:15], s[14:15], 3
	s_and_b32 s21, s21, 0xffff
	s_cmp_eq_u32 s20, 0
	s_cselect_b32 s20, ttmp9, s23
	s_delay_alu instid0(SALU_CYCLE_1) | instskip(SKIP_4) | instid1(VALU_DEP_1)
	v_mad_u32 v0, s20, s21, v0
	s_load_b256 s[20:27], s[0:1], 0x48
	s_wait_xcnt 0x0
	s_add_nc_u64 s[0:1], s[4:5], s[6:7]
	s_add_nc_u64 s[4:5], s[12:13], s[14:15]
	v_mul_u64_e32 v[2:3], s[8:9], v[0:1]
	v_mul_u64_e32 v[4:5], s[16:17], v[0:1]
	v_cmp_gt_i64_e32 vcc_lo, s[30:31], v[0:1]
	s_delay_alu instid0(VALU_DEP_3) | instskip(NEXT) | instid1(VALU_DEP_3)
	v_lshl_add_u64 v[2:3], v[2:3], 3, s[0:1]
	v_lshl_add_u64 v[4:5], v[4:5], 3, s[4:5]
	s_branch .LBB2_3
.LBB2_2:                                ;   in Loop: Header=BB2_3 Depth=1
	s_wait_xcnt 0x0
	s_or_b32 exec_lo, exec_lo, s0
	s_add_co_i32 s2, s2, 0x10000
	s_delay_alu instid0(SALU_CYCLE_1)
	s_cmp_lt_u32 s2, s28
	s_cbranch_scc0 .LBB2_5
.LBB2_3:                                ; =>This Inner Loop Header: Depth=1
	s_and_saveexec_b32 s0, vcc_lo
	s_cbranch_execz .LBB2_2
; %bb.4:                                ;   in Loop: Header=BB2_3 Depth=1
	s_wait_kmcnt 0x0
	s_mul_u64 s[6:7], s[26:27], s[2:3]
	s_mul_u64 s[8:9], s[10:11], s[2:3]
	;; [unrolled: 1-line block ×3, first 2 shown]
	s_lshl_b64 s[6:7], s[6:7], 3
	v_lshl_add_u64 v[6:7], s[8:9], 3, v[2:3]
	v_lshl_add_u64 v[8:9], s[4:5], 3, v[4:5]
	s_add_nc_u64 s[4:5], s[24:25], s[6:7]
	global_load_b64 v[10:11], v1, s[4:5]
	global_load_b64 v[12:13], v[6:7], off
	global_load_b64 v[14:15], v[8:9], off
	s_wait_xcnt 0x2
	s_mul_u64 s[4:5], s[22:23], s[2:3]
	s_delay_alu instid0(SALU_CYCLE_1) | instskip(NEXT) | instid1(SALU_CYCLE_1)
	s_lshl_b64 s[4:5], s[4:5], 3
	s_add_nc_u64 s[4:5], s[20:21], s[4:5]
	global_load_b64 v[16:17], v1, s[4:5]
	s_wait_loadcnt 0x2
	v_mul_f64_e32 v[18:19], v[10:11], v[12:13]
	s_wait_loadcnt 0x1
	v_mul_f64_e32 v[10:11], v[10:11], v[14:15]
	s_wait_loadcnt 0x0
	s_delay_alu instid0(VALU_DEP_2) | instskip(NEXT) | instid1(VALU_DEP_2)
	v_fma_f64 v[14:15], v[16:17], v[14:15], -v[18:19]
	v_fmac_f64_e32 v[10:11], v[16:17], v[12:13]
	global_store_b64 v[8:9], v[14:15], off
	global_store_b64 v[6:7], v[10:11], off
	s_branch .LBB2_2
.LBB2_5:
	s_endpgm
	.section	.rodata,"a",@progbits
	.p2align	6, 0x0
	.amdhsa_kernel _ZL18rocblas_rot_kernelIiLi512EdPdS0_PKdS2_EviT2_lllT3_lllT4_lT5_li
		.amdhsa_group_segment_fixed_size 0
		.amdhsa_private_segment_fixed_size 0
		.amdhsa_kernarg_size 368
		.amdhsa_user_sgpr_count 2
		.amdhsa_user_sgpr_dispatch_ptr 0
		.amdhsa_user_sgpr_queue_ptr 0
		.amdhsa_user_sgpr_kernarg_segment_ptr 1
		.amdhsa_user_sgpr_dispatch_id 0
		.amdhsa_user_sgpr_kernarg_preload_length 0
		.amdhsa_user_sgpr_kernarg_preload_offset 0
		.amdhsa_user_sgpr_private_segment_size 0
		.amdhsa_wavefront_size32 1
		.amdhsa_uses_dynamic_stack 0
		.amdhsa_enable_private_segment 0
		.amdhsa_system_sgpr_workgroup_id_x 1
		.amdhsa_system_sgpr_workgroup_id_y 0
		.amdhsa_system_sgpr_workgroup_id_z 1
		.amdhsa_system_sgpr_workgroup_info 0
		.amdhsa_system_vgpr_workitem_id 0
		.amdhsa_next_free_vgpr 20
		.amdhsa_next_free_sgpr 32
		.amdhsa_named_barrier_count 0
		.amdhsa_reserve_vcc 1
		.amdhsa_float_round_mode_32 0
		.amdhsa_float_round_mode_16_64 0
		.amdhsa_float_denorm_mode_32 3
		.amdhsa_float_denorm_mode_16_64 3
		.amdhsa_fp16_overflow 0
		.amdhsa_memory_ordered 1
		.amdhsa_forward_progress 1
		.amdhsa_inst_pref_size 4
		.amdhsa_round_robin_scheduling 0
		.amdhsa_exception_fp_ieee_invalid_op 0
		.amdhsa_exception_fp_denorm_src 0
		.amdhsa_exception_fp_ieee_div_zero 0
		.amdhsa_exception_fp_ieee_overflow 0
		.amdhsa_exception_fp_ieee_underflow 0
		.amdhsa_exception_fp_ieee_inexact 0
		.amdhsa_exception_int_div_zero 0
	.end_amdhsa_kernel
	.section	.text._ZL18rocblas_rot_kernelIiLi512EdPdS0_PKdS2_EviT2_lllT3_lllT4_lT5_li,"axG",@progbits,_ZL18rocblas_rot_kernelIiLi512EdPdS0_PKdS2_EviT2_lllT3_lllT4_lT5_li,comdat
.Lfunc_end2:
	.size	_ZL18rocblas_rot_kernelIiLi512EdPdS0_PKdS2_EviT2_lllT3_lllT4_lT5_li, .Lfunc_end2-_ZL18rocblas_rot_kernelIiLi512EdPdS0_PKdS2_EviT2_lllT3_lllT4_lT5_li
                                        ; -- End function
	.set _ZL18rocblas_rot_kernelIiLi512EdPdS0_PKdS2_EviT2_lllT3_lllT4_lT5_li.num_vgpr, 20
	.set _ZL18rocblas_rot_kernelIiLi512EdPdS0_PKdS2_EviT2_lllT3_lllT4_lT5_li.num_agpr, 0
	.set _ZL18rocblas_rot_kernelIiLi512EdPdS0_PKdS2_EviT2_lllT3_lllT4_lT5_li.numbered_sgpr, 32
	.set _ZL18rocblas_rot_kernelIiLi512EdPdS0_PKdS2_EviT2_lllT3_lllT4_lT5_li.num_named_barrier, 0
	.set _ZL18rocblas_rot_kernelIiLi512EdPdS0_PKdS2_EviT2_lllT3_lllT4_lT5_li.private_seg_size, 0
	.set _ZL18rocblas_rot_kernelIiLi512EdPdS0_PKdS2_EviT2_lllT3_lllT4_lT5_li.uses_vcc, 1
	.set _ZL18rocblas_rot_kernelIiLi512EdPdS0_PKdS2_EviT2_lllT3_lllT4_lT5_li.uses_flat_scratch, 0
	.set _ZL18rocblas_rot_kernelIiLi512EdPdS0_PKdS2_EviT2_lllT3_lllT4_lT5_li.has_dyn_sized_stack, 0
	.set _ZL18rocblas_rot_kernelIiLi512EdPdS0_PKdS2_EviT2_lllT3_lllT4_lT5_li.has_recursion, 0
	.set _ZL18rocblas_rot_kernelIiLi512EdPdS0_PKdS2_EviT2_lllT3_lllT4_lT5_li.has_indirect_call, 0
	.section	.AMDGPU.csdata,"",@progbits
; Kernel info:
; codeLenInByte = 440
; TotalNumSgprs: 34
; NumVgprs: 20
; ScratchSize: 0
; MemoryBound: 0
; FloatMode: 240
; IeeeMode: 1
; LDSByteSize: 0 bytes/workgroup (compile time only)
; SGPRBlocks: 0
; VGPRBlocks: 1
; NumSGPRsForWavesPerEU: 34
; NumVGPRsForWavesPerEU: 20
; NamedBarCnt: 0
; Occupancy: 16
; WaveLimiterHint : 0
; COMPUTE_PGM_RSRC2:SCRATCH_EN: 0
; COMPUTE_PGM_RSRC2:USER_SGPR: 2
; COMPUTE_PGM_RSRC2:TRAP_HANDLER: 0
; COMPUTE_PGM_RSRC2:TGID_X_EN: 1
; COMPUTE_PGM_RSRC2:TGID_Y_EN: 0
; COMPUTE_PGM_RSRC2:TGID_Z_EN: 1
; COMPUTE_PGM_RSRC2:TIDIG_COMP_CNT: 0
	.section	.text._ZL18rocblas_rot_kernelIiLi512EdPdS0_ddEviT2_lllT3_lllT4_lT5_li,"axG",@progbits,_ZL18rocblas_rot_kernelIiLi512EdPdS0_ddEviT2_lllT3_lllT4_lT5_li,comdat
	.globl	_ZL18rocblas_rot_kernelIiLi512EdPdS0_ddEviT2_lllT3_lllT4_lT5_li ; -- Begin function _ZL18rocblas_rot_kernelIiLi512EdPdS0_ddEviT2_lllT3_lllT4_lT5_li
	.p2align	8
	.type	_ZL18rocblas_rot_kernelIiLi512EdPdS0_ddEviT2_lllT3_lllT4_lT5_li,@function
_ZL18rocblas_rot_kernelIiLi512EdPdS0_ddEviT2_lllT3_lllT4_lT5_li: ; @_ZL18rocblas_rot_kernelIiLi512EdPdS0_ddEviT2_lllT3_lllT4_lT5_li
; %bb.0:
	s_load_b32 s20, s[0:1], 0x68
	s_bfe_u32 s2, ttmp6, 0x40014
	s_lshr_b32 s3, ttmp7, 16
	s_add_co_i32 s2, s2, 1
	s_bfe_u32 s4, ttmp6, 0x40008
	s_mul_i32 s2, s3, s2
	s_getreg_b32 s21, hwreg(HW_REG_IB_STS2, 6, 4)
	s_add_co_i32 s4, s4, s2
	s_cmp_eq_u32 s21, 0
	s_cselect_b32 s2, s3, s4
	s_mov_b32 s3, 0
	s_wait_kmcnt 0x0
	s_cmp_ge_u32 s2, s20
	s_cbranch_scc1 .LBB3_5
; %bb.1:
	s_clause 0x2
	s_load_b32 s22, s[0:1], 0x0
	s_load_b512 s[4:19], s[0:1], 0x8
	s_load_b32 s26, s[0:1], 0x7c
	s_bfe_u32 s23, ttmp6, 0x4000c
	s_and_b32 s24, ttmp6, 15
	s_add_co_i32 s23, s23, 1
	v_mov_b32_e32 v1, 0
	s_mul_i32 s23, ttmp9, s23
	s_delay_alu instid0(SALU_CYCLE_1)
	s_add_co_i32 s27, s24, s23
	s_wait_kmcnt 0x0
	s_ashr_i32 s23, s22, 31
	s_lshl_b64 s[24:25], s[6:7], 3
	s_lshl_b64 s[14:15], s[14:15], 3
	s_and_b32 s6, s26, 0xffff
	s_cmp_eq_u32 s21, 0
	s_cselect_b32 s7, ttmp9, s27
	s_delay_alu instid0(SALU_CYCLE_1) | instskip(NEXT) | instid1(VALU_DEP_1)
	v_mad_u32 v0, s7, s6, v0
	v_mul_u64_e32 v[2:3], s[8:9], v[0:1]
	v_mul_u64_e32 v[4:5], s[16:17], v[0:1]
	s_clause 0x1
	s_load_b64 s[6:7], s[0:1], 0x48
	s_load_b64 s[8:9], s[0:1], 0x58
	s_wait_xcnt 0x0
	s_add_nc_u64 s[0:1], s[4:5], s[24:25]
	s_add_nc_u64 s[4:5], s[12:13], s[14:15]
	v_cmp_gt_i64_e32 vcc_lo, s[22:23], v[0:1]
	s_delay_alu instid0(VALU_DEP_3) | instskip(NEXT) | instid1(VALU_DEP_3)
	v_lshl_add_u64 v[0:1], v[2:3], 3, s[0:1]
	v_lshl_add_u64 v[2:3], v[4:5], 3, s[4:5]
	s_branch .LBB3_3
.LBB3_2:                                ;   in Loop: Header=BB3_3 Depth=1
	s_wait_xcnt 0x0
	s_or_b32 exec_lo, exec_lo, s0
	s_add_co_i32 s2, s2, 0x10000
	s_delay_alu instid0(SALU_CYCLE_1)
	s_cmp_lt_u32 s2, s20
	s_cbranch_scc0 .LBB3_5
.LBB3_3:                                ; =>This Inner Loop Header: Depth=1
	s_and_saveexec_b32 s0, vcc_lo
	s_cbranch_execz .LBB3_2
; %bb.4:                                ;   in Loop: Header=BB3_3 Depth=1
	s_mul_u64 s[4:5], s[10:11], s[2:3]
	s_mul_u64 s[12:13], s[18:19], s[2:3]
	v_lshl_add_u64 v[4:5], s[4:5], 3, v[0:1]
	v_lshl_add_u64 v[6:7], s[12:13], 3, v[2:3]
	global_load_b64 v[8:9], v[4:5], off
	global_load_b64 v[10:11], v[6:7], off
	s_wait_loadcnt 0x1
	s_wait_kmcnt 0x0
	v_mul_f64_e32 v[12:13], s[8:9], v[8:9]
	s_wait_loadcnt 0x0
	v_mul_f64_e32 v[14:15], s[8:9], v[10:11]
	s_delay_alu instid0(VALU_DEP_2) | instskip(NEXT) | instid1(VALU_DEP_2)
	v_fma_f64 v[10:11], s[6:7], v[10:11], -v[12:13]
	v_fmac_f64_e32 v[14:15], s[6:7], v[8:9]
	global_store_b64 v[6:7], v[10:11], off
	global_store_b64 v[4:5], v[14:15], off
	s_branch .LBB3_2
.LBB3_5:
	s_endpgm
	.section	.rodata,"a",@progbits
	.p2align	6, 0x0
	.amdhsa_kernel _ZL18rocblas_rot_kernelIiLi512EdPdS0_ddEviT2_lllT3_lllT4_lT5_li
		.amdhsa_group_segment_fixed_size 0
		.amdhsa_private_segment_fixed_size 0
		.amdhsa_kernarg_size 368
		.amdhsa_user_sgpr_count 2
		.amdhsa_user_sgpr_dispatch_ptr 0
		.amdhsa_user_sgpr_queue_ptr 0
		.amdhsa_user_sgpr_kernarg_segment_ptr 1
		.amdhsa_user_sgpr_dispatch_id 0
		.amdhsa_user_sgpr_kernarg_preload_length 0
		.amdhsa_user_sgpr_kernarg_preload_offset 0
		.amdhsa_user_sgpr_private_segment_size 0
		.amdhsa_wavefront_size32 1
		.amdhsa_uses_dynamic_stack 0
		.amdhsa_enable_private_segment 0
		.amdhsa_system_sgpr_workgroup_id_x 1
		.amdhsa_system_sgpr_workgroup_id_y 0
		.amdhsa_system_sgpr_workgroup_id_z 1
		.amdhsa_system_sgpr_workgroup_info 0
		.amdhsa_system_vgpr_workitem_id 0
		.amdhsa_next_free_vgpr 16
		.amdhsa_next_free_sgpr 28
		.amdhsa_named_barrier_count 0
		.amdhsa_reserve_vcc 1
		.amdhsa_float_round_mode_32 0
		.amdhsa_float_round_mode_16_64 0
		.amdhsa_float_denorm_mode_32 3
		.amdhsa_float_denorm_mode_16_64 3
		.amdhsa_fp16_overflow 0
		.amdhsa_memory_ordered 1
		.amdhsa_forward_progress 1
		.amdhsa_inst_pref_size 4
		.amdhsa_round_robin_scheduling 0
		.amdhsa_exception_fp_ieee_invalid_op 0
		.amdhsa_exception_fp_denorm_src 0
		.amdhsa_exception_fp_ieee_div_zero 0
		.amdhsa_exception_fp_ieee_overflow 0
		.amdhsa_exception_fp_ieee_underflow 0
		.amdhsa_exception_fp_ieee_inexact 0
		.amdhsa_exception_int_div_zero 0
	.end_amdhsa_kernel
	.section	.text._ZL18rocblas_rot_kernelIiLi512EdPdS0_ddEviT2_lllT3_lllT4_lT5_li,"axG",@progbits,_ZL18rocblas_rot_kernelIiLi512EdPdS0_ddEviT2_lllT3_lllT4_lT5_li,comdat
.Lfunc_end3:
	.size	_ZL18rocblas_rot_kernelIiLi512EdPdS0_ddEviT2_lllT3_lllT4_lT5_li, .Lfunc_end3-_ZL18rocblas_rot_kernelIiLi512EdPdS0_ddEviT2_lllT3_lllT4_lT5_li
                                        ; -- End function
	.set _ZL18rocblas_rot_kernelIiLi512EdPdS0_ddEviT2_lllT3_lllT4_lT5_li.num_vgpr, 16
	.set _ZL18rocblas_rot_kernelIiLi512EdPdS0_ddEviT2_lllT3_lllT4_lT5_li.num_agpr, 0
	.set _ZL18rocblas_rot_kernelIiLi512EdPdS0_ddEviT2_lllT3_lllT4_lT5_li.numbered_sgpr, 28
	.set _ZL18rocblas_rot_kernelIiLi512EdPdS0_ddEviT2_lllT3_lllT4_lT5_li.num_named_barrier, 0
	.set _ZL18rocblas_rot_kernelIiLi512EdPdS0_ddEviT2_lllT3_lllT4_lT5_li.private_seg_size, 0
	.set _ZL18rocblas_rot_kernelIiLi512EdPdS0_ddEviT2_lllT3_lllT4_lT5_li.uses_vcc, 1
	.set _ZL18rocblas_rot_kernelIiLi512EdPdS0_ddEviT2_lllT3_lllT4_lT5_li.uses_flat_scratch, 0
	.set _ZL18rocblas_rot_kernelIiLi512EdPdS0_ddEviT2_lllT3_lllT4_lT5_li.has_dyn_sized_stack, 0
	.set _ZL18rocblas_rot_kernelIiLi512EdPdS0_ddEviT2_lllT3_lllT4_lT5_li.has_recursion, 0
	.set _ZL18rocblas_rot_kernelIiLi512EdPdS0_ddEviT2_lllT3_lllT4_lT5_li.has_indirect_call, 0
	.section	.AMDGPU.csdata,"",@progbits
; Kernel info:
; codeLenInByte = 392
; TotalNumSgprs: 30
; NumVgprs: 16
; ScratchSize: 0
; MemoryBound: 0
; FloatMode: 240
; IeeeMode: 1
; LDSByteSize: 0 bytes/workgroup (compile time only)
; SGPRBlocks: 0
; VGPRBlocks: 0
; NumSGPRsForWavesPerEU: 30
; NumVGPRsForWavesPerEU: 16
; NamedBarCnt: 0
; Occupancy: 16
; WaveLimiterHint : 0
; COMPUTE_PGM_RSRC2:SCRATCH_EN: 0
; COMPUTE_PGM_RSRC2:USER_SGPR: 2
; COMPUTE_PGM_RSRC2:TRAP_HANDLER: 0
; COMPUTE_PGM_RSRC2:TGID_X_EN: 1
; COMPUTE_PGM_RSRC2:TGID_Y_EN: 0
; COMPUTE_PGM_RSRC2:TGID_Z_EN: 1
; COMPUTE_PGM_RSRC2:TIDIG_COMP_CNT: 0
	.section	.text._ZL18rocblas_rot_kernelIiLi512EfP16rocblas_bfloat16S1_PKS0_S3_EviT2_lllT3_lllT4_lT5_li,"axG",@progbits,_ZL18rocblas_rot_kernelIiLi512EfP16rocblas_bfloat16S1_PKS0_S3_EviT2_lllT3_lllT4_lT5_li,comdat
	.globl	_ZL18rocblas_rot_kernelIiLi512EfP16rocblas_bfloat16S1_PKS0_S3_EviT2_lllT3_lllT4_lT5_li ; -- Begin function _ZL18rocblas_rot_kernelIiLi512EfP16rocblas_bfloat16S1_PKS0_S3_EviT2_lllT3_lllT4_lT5_li
	.p2align	8
	.type	_ZL18rocblas_rot_kernelIiLi512EfP16rocblas_bfloat16S1_PKS0_S3_EviT2_lllT3_lllT4_lT5_li,@function
_ZL18rocblas_rot_kernelIiLi512EfP16rocblas_bfloat16S1_PKS0_S3_EviT2_lllT3_lllT4_lT5_li: ; @_ZL18rocblas_rot_kernelIiLi512EfP16rocblas_bfloat16S1_PKS0_S3_EviT2_lllT3_lllT4_lT5_li
; %bb.0:
	s_load_b32 s28, s[0:1], 0x68
	s_bfe_u32 s2, ttmp6, 0x40014
	s_lshr_b32 s3, ttmp7, 16
	s_add_co_i32 s2, s2, 1
	s_bfe_u32 s4, ttmp6, 0x40008
	s_mul_i32 s2, s3, s2
	s_getreg_b32 s20, hwreg(HW_REG_IB_STS2, 6, 4)
	s_add_co_i32 s4, s4, s2
	s_cmp_eq_u32 s20, 0
	s_cselect_b32 s2, s3, s4
	s_mov_b32 s3, 0
	s_wait_kmcnt 0x0
	s_cmp_ge_u32 s2, s28
	s_cbranch_scc1 .LBB4_29
; %bb.1:
	s_clause 0x2
	s_load_b32 s30, s[0:1], 0x0
	s_load_b512 s[4:19], s[0:1], 0x8
	s_load_b32 s21, s[0:1], 0x7c
	s_bfe_u32 s22, ttmp6, 0x4000c
	s_and_b32 s23, ttmp6, 15
	s_add_co_i32 s22, s22, 1
	v_mov_b32_e32 v1, 0
	s_mul_i32 s22, ttmp9, s22
	s_delay_alu instid0(SALU_CYCLE_1)
	s_add_co_i32 s23, s23, s22
	s_wait_kmcnt 0x0
	s_ashr_i32 s31, s30, 31
	s_lshl_b64 s[6:7], s[6:7], 1
	s_lshl_b64 s[14:15], s[14:15], 1
	s_and_b32 s21, s21, 0xffff
	s_cmp_eq_u32 s20, 0
	s_cselect_b32 s20, ttmp9, s23
	s_delay_alu instid0(SALU_CYCLE_1) | instskip(SKIP_4) | instid1(VALU_DEP_1)
	v_mad_u32 v0, s20, s21, v0
	s_load_b256 s[20:27], s[0:1], 0x48
	s_wait_xcnt 0x0
	s_add_nc_u64 s[0:1], s[4:5], s[6:7]
	s_add_nc_u64 s[4:5], s[12:13], s[14:15]
	v_mul_u64_e32 v[2:3], s[8:9], v[0:1]
	v_mul_u64_e32 v[4:5], s[16:17], v[0:1]
	v_cmp_gt_i64_e32 vcc_lo, s[30:31], v[0:1]
	s_delay_alu instid0(VALU_DEP_3) | instskip(NEXT) | instid1(VALU_DEP_3)
	v_lshl_add_u64 v[2:3], v[2:3], 1, s[0:1]
	v_lshl_add_u64 v[4:5], v[4:5], 1, s[4:5]
	s_branch .LBB4_4
.LBB4_2:                                ;   in Loop: Header=BB4_4 Depth=1
	s_or_b32 exec_lo, exec_lo, s4
	global_store_d16_hi_b16 v[6:7], v0, off
.LBB4_3:                                ;   in Loop: Header=BB4_4 Depth=1
	s_wait_xcnt 0x0
	s_or_b32 exec_lo, exec_lo, s1
	s_add_co_i32 s2, s2, 0x10000
	s_delay_alu instid0(SALU_CYCLE_1)
	s_cmp_lt_u32 s2, s28
	s_cbranch_scc0 .LBB4_29
.LBB4_4:                                ; =>This Inner Loop Header: Depth=1
	s_and_saveexec_b32 s1, vcc_lo
	s_cbranch_execz .LBB4_3
; %bb.5:                                ;   in Loop: Header=BB4_4 Depth=1
	s_mul_u64 s[4:5], s[10:11], s[2:3]
                                        ; implicit-def: $vgpr15
	s_delay_alu instid0(SALU_CYCLE_1) | instskip(SKIP_2) | instid1(SALU_CYCLE_1)
	v_lshl_add_u64 v[6:7], s[4:5], 1, v[2:3]
	s_wait_kmcnt 0x0
	s_mul_u64 s[4:5], s[22:23], s[2:3]
	s_lshl_b64 s[4:5], s[4:5], 1
	s_delay_alu instid0(SALU_CYCLE_1) | instskip(SKIP_4) | instid1(SALU_CYCLE_1)
	s_add_nc_u64 s[4:5], s[20:21], s[4:5]
	global_load_u16 v0, v[6:7], off
	global_load_u16 v8, v1, s[4:5]
	s_wait_xcnt 0x0
	s_mul_u64 s[4:5], s[26:27], s[2:3]
	s_lshl_b64 s[4:5], s[4:5], 1
	s_delay_alu instid0(SALU_CYCLE_1) | instskip(SKIP_4) | instid1(VALU_DEP_1)
	s_add_nc_u64 s[4:5], s[24:25], s[4:5]
	global_load_u16 v12, v1, s[4:5]
	s_wait_loadcnt 0x2
	v_lshlrev_b32_e32 v11, 16, v0
	s_wait_loadcnt 0x1
	v_dual_lshlrev_b32 v10, 16, v8 :: v_dual_mov_b32 v0, v11
	s_delay_alu instid0(VALU_DEP_1) | instskip(NEXT) | instid1(VALU_DEP_1)
	v_pk_mul_f32 v[8:9], v[0:1], v[10:11]
	v_and_b32_e32 v9, 0x7f800000, v8
	s_delay_alu instid0(VALU_DEP_1) | instskip(SKIP_2) | instid1(SALU_CYCLE_1)
	v_cmp_ne_u32_e64 s0, 0x7f800000, v9
	s_wait_xcnt 0x0
	s_and_saveexec_b32 s4, s0
	s_xor_b32 s0, exec_lo, s4
; %bb.6:                                ;   in Loop: Header=BB4_4 Depth=1
	v_bfe_u32 v9, v8, 16, 1
	s_delay_alu instid0(VALU_DEP_1)
	v_add3_u32 v15, v8, v9, 0x7fff
                                        ; implicit-def: $vgpr8_vgpr9
; %bb.7:                                ;   in Loop: Header=BB4_4 Depth=1
	s_and_not1_saveexec_b32 s4, s0
; %bb.8:                                ;   in Loop: Header=BB4_4 Depth=1
	v_and_b32_e32 v9, 0xffff, v8
	v_or_b32_e32 v13, 0x10000, v8
	s_delay_alu instid0(VALU_DEP_2) | instskip(NEXT) | instid1(VALU_DEP_1)
	v_cmp_eq_u32_e64 s0, 0, v9
	v_cndmask_b32_e64 v15, v13, v8, s0
; %bb.9:                                ;   in Loop: Header=BB4_4 Depth=1
	s_or_b32 exec_lo, exec_lo, s4
	s_mul_u64 s[4:5], s[18:19], s[2:3]
                                        ; implicit-def: $vgpr18
	s_wait_loadcnt 0x0
	v_lshlrev_b32_e32 v12, 16, v12
	v_lshl_add_u64 v[8:9], s[4:5], 1, v[4:5]
	global_load_u16 v13, v[8:9], off
	s_wait_loadcnt 0x0
	v_lshlrev_b32_e32 v13, 16, v13
	s_delay_alu instid0(VALU_DEP_1) | instskip(NEXT) | instid1(VALU_DEP_1)
	v_mov_b32_e32 v14, v13
	v_pk_mul_f32 v[16:17], v[14:15], v[12:13]
	s_delay_alu instid0(VALU_DEP_1) | instskip(NEXT) | instid1(VALU_DEP_1)
	v_and_b32_e32 v17, 0x7f800000, v16
	v_cmp_ne_u32_e64 s0, 0x7f800000, v17
	s_wait_xcnt 0x0
	s_and_saveexec_b32 s4, s0
	s_delay_alu instid0(SALU_CYCLE_1)
	s_xor_b32 s0, exec_lo, s4
; %bb.10:                               ;   in Loop: Header=BB4_4 Depth=1
	v_bfe_u32 v17, v16, 16, 1
	s_delay_alu instid0(VALU_DEP_1)
	v_add3_u32 v18, v16, v17, 0x7fff
                                        ; implicit-def: $vgpr16_vgpr17
; %bb.11:                               ;   in Loop: Header=BB4_4 Depth=1
	s_and_not1_saveexec_b32 s4, s0
; %bb.12:                               ;   in Loop: Header=BB4_4 Depth=1
	v_and_b32_e32 v17, 0xffff, v16
	v_or_b32_e32 v18, 0x10000, v16
	s_delay_alu instid0(VALU_DEP_2) | instskip(NEXT) | instid1(VALU_DEP_1)
	v_cmp_eq_u32_e64 s0, 0, v17
	v_cndmask_b32_e64 v18, v18, v16, s0
; %bb.13:                               ;   in Loop: Header=BB4_4 Depth=1
	s_or_b32 exec_lo, exec_lo, s4
	v_pk_mul_f32 v[10:11], v[14:15], v[10:11]
                                        ; implicit-def: $vgpr14
	s_delay_alu instid0(VALU_DEP_1) | instskip(NEXT) | instid1(VALU_DEP_1)
	v_and_b32_e32 v11, 0x7f800000, v10
	v_cmp_ne_u32_e64 s0, 0x7f800000, v11
	s_and_saveexec_b32 s4, s0
	s_delay_alu instid0(SALU_CYCLE_1)
	s_xor_b32 s0, exec_lo, s4
; %bb.14:                               ;   in Loop: Header=BB4_4 Depth=1
	v_bfe_u32 v11, v10, 16, 1
	s_delay_alu instid0(VALU_DEP_1)
	v_add3_u32 v14, v10, v11, 0x7fff
                                        ; implicit-def: $vgpr10_vgpr11
; %bb.15:                               ;   in Loop: Header=BB4_4 Depth=1
	s_and_not1_saveexec_b32 s4, s0
; %bb.16:                               ;   in Loop: Header=BB4_4 Depth=1
	v_and_b32_e32 v11, 0xffff, v10
	v_or_b32_e32 v14, 0x10000, v10
	s_delay_alu instid0(VALU_DEP_2) | instskip(NEXT) | instid1(VALU_DEP_1)
	v_cmp_eq_u32_e64 s0, 0, v11
	v_cndmask_b32_e64 v14, v14, v10, s0
; %bb.17:                               ;   in Loop: Header=BB4_4 Depth=1
	s_or_b32 exec_lo, exec_lo, s4
	v_pk_mul_f32 v[10:11], v[0:1], v[12:13]
	s_delay_alu instid0(VALU_DEP_1) | instskip(NEXT) | instid1(VALU_DEP_1)
	v_and_b32_e32 v0, 0x7f800000, v10
	v_cmp_ne_u32_e64 s0, 0x7f800000, v0
                                        ; implicit-def: $vgpr0
	s_and_saveexec_b32 s4, s0
	s_delay_alu instid0(SALU_CYCLE_1)
	s_xor_b32 s0, exec_lo, s4
; %bb.18:                               ;   in Loop: Header=BB4_4 Depth=1
	v_bfe_u32 v0, v10, 16, 1
	s_delay_alu instid0(VALU_DEP_1)
	v_add3_u32 v0, v10, v0, 0x7fff
                                        ; implicit-def: $vgpr10_vgpr11
; %bb.19:                               ;   in Loop: Header=BB4_4 Depth=1
	s_and_not1_saveexec_b32 s4, s0
; %bb.20:                               ;   in Loop: Header=BB4_4 Depth=1
	v_and_b32_e32 v0, 0xffff, v10
	v_or_b32_e32 v11, 0x10000, v10
	s_delay_alu instid0(VALU_DEP_2) | instskip(NEXT) | instid1(VALU_DEP_1)
	v_cmp_eq_u32_e64 s0, 0, v0
	v_cndmask_b32_e64 v0, v11, v10, s0
; %bb.21:                               ;   in Loop: Header=BB4_4 Depth=1
	s_or_b32 exec_lo, exec_lo, s4
	v_and_b32_e32 v10, 0xffff0000, v14
	s_delay_alu instid0(VALU_DEP_2) | instskip(NEXT) | instid1(VALU_DEP_1)
	v_and_b32_e32 v0, 0xffff0000, v0
	v_sub_f32_e32 v10, v10, v0
	s_delay_alu instid0(VALU_DEP_1) | instskip(NEXT) | instid1(VALU_DEP_1)
	v_and_b32_e32 v0, 0x7f800000, v10
	v_cmp_ne_u32_e64 s0, 0x7f800000, v0
                                        ; implicit-def: $vgpr0
	s_and_saveexec_b32 s4, s0
	s_delay_alu instid0(SALU_CYCLE_1)
	s_xor_b32 s0, exec_lo, s4
; %bb.22:                               ;   in Loop: Header=BB4_4 Depth=1
	v_bfe_u32 v0, v10, 16, 1
	s_delay_alu instid0(VALU_DEP_1)
	v_add3_u32 v0, v10, v0, 0x7fff
                                        ; implicit-def: $vgpr10
; %bb.23:                               ;   in Loop: Header=BB4_4 Depth=1
	s_and_not1_saveexec_b32 s4, s0
; %bb.24:                               ;   in Loop: Header=BB4_4 Depth=1
	v_and_b32_e32 v0, 0xffff, v10
	v_or_b32_e32 v11, 0x10000, v10
	s_delay_alu instid0(VALU_DEP_2) | instskip(NEXT) | instid1(VALU_DEP_1)
	v_cmp_eq_u32_e64 s0, 0, v0
	v_cndmask_b32_e64 v0, v11, v10, s0
; %bb.25:                               ;   in Loop: Header=BB4_4 Depth=1
	s_or_b32 exec_lo, exec_lo, s4
	v_and_b32_e32 v10, 0xffff0000, v15
	v_and_b32_e32 v11, 0xffff0000, v18
	global_store_d16_hi_b16 v[8:9], v0, off
                                        ; implicit-def: $vgpr0
	v_add_f32_e32 v10, v10, v11
	s_delay_alu instid0(VALU_DEP_1) | instskip(NEXT) | instid1(VALU_DEP_1)
	v_and_b32_e32 v11, 0x7f800000, v10
	v_cmp_ne_u32_e64 s0, 0x7f800000, v11
	s_wait_xcnt 0x0
	s_and_saveexec_b32 s4, s0
	s_delay_alu instid0(SALU_CYCLE_1)
	s_xor_b32 s0, exec_lo, s4
; %bb.26:                               ;   in Loop: Header=BB4_4 Depth=1
	v_bfe_u32 v0, v10, 16, 1
	s_delay_alu instid0(VALU_DEP_1)
	v_add3_u32 v0, v10, v0, 0x7fff
                                        ; implicit-def: $vgpr10
; %bb.27:                               ;   in Loop: Header=BB4_4 Depth=1
	s_and_not1_saveexec_b32 s4, s0
	s_cbranch_execz .LBB4_2
; %bb.28:                               ;   in Loop: Header=BB4_4 Depth=1
	v_and_b32_e32 v0, 0xffff, v10
	v_or_b32_e32 v8, 0x10000, v10
	s_delay_alu instid0(VALU_DEP_2) | instskip(NEXT) | instid1(VALU_DEP_1)
	v_cmp_eq_u32_e64 s0, 0, v0
	v_cndmask_b32_e64 v0, v8, v10, s0
	s_branch .LBB4_2
.LBB4_29:
	s_endpgm
	.section	.rodata,"a",@progbits
	.p2align	6, 0x0
	.amdhsa_kernel _ZL18rocblas_rot_kernelIiLi512EfP16rocblas_bfloat16S1_PKS0_S3_EviT2_lllT3_lllT4_lT5_li
		.amdhsa_group_segment_fixed_size 0
		.amdhsa_private_segment_fixed_size 0
		.amdhsa_kernarg_size 368
		.amdhsa_user_sgpr_count 2
		.amdhsa_user_sgpr_dispatch_ptr 0
		.amdhsa_user_sgpr_queue_ptr 0
		.amdhsa_user_sgpr_kernarg_segment_ptr 1
		.amdhsa_user_sgpr_dispatch_id 0
		.amdhsa_user_sgpr_kernarg_preload_length 0
		.amdhsa_user_sgpr_kernarg_preload_offset 0
		.amdhsa_user_sgpr_private_segment_size 0
		.amdhsa_wavefront_size32 1
		.amdhsa_uses_dynamic_stack 0
		.amdhsa_enable_private_segment 0
		.amdhsa_system_sgpr_workgroup_id_x 1
		.amdhsa_system_sgpr_workgroup_id_y 0
		.amdhsa_system_sgpr_workgroup_id_z 1
		.amdhsa_system_sgpr_workgroup_info 0
		.amdhsa_system_vgpr_workitem_id 0
		.amdhsa_next_free_vgpr 19
		.amdhsa_next_free_sgpr 32
		.amdhsa_named_barrier_count 0
		.amdhsa_reserve_vcc 1
		.amdhsa_float_round_mode_32 0
		.amdhsa_float_round_mode_16_64 0
		.amdhsa_float_denorm_mode_32 3
		.amdhsa_float_denorm_mode_16_64 3
		.amdhsa_fp16_overflow 0
		.amdhsa_memory_ordered 1
		.amdhsa_forward_progress 1
		.amdhsa_inst_pref_size 10
		.amdhsa_round_robin_scheduling 0
		.amdhsa_exception_fp_ieee_invalid_op 0
		.amdhsa_exception_fp_denorm_src 0
		.amdhsa_exception_fp_ieee_div_zero 0
		.amdhsa_exception_fp_ieee_overflow 0
		.amdhsa_exception_fp_ieee_underflow 0
		.amdhsa_exception_fp_ieee_inexact 0
		.amdhsa_exception_int_div_zero 0
	.end_amdhsa_kernel
	.section	.text._ZL18rocblas_rot_kernelIiLi512EfP16rocblas_bfloat16S1_PKS0_S3_EviT2_lllT3_lllT4_lT5_li,"axG",@progbits,_ZL18rocblas_rot_kernelIiLi512EfP16rocblas_bfloat16S1_PKS0_S3_EviT2_lllT3_lllT4_lT5_li,comdat
.Lfunc_end4:
	.size	_ZL18rocblas_rot_kernelIiLi512EfP16rocblas_bfloat16S1_PKS0_S3_EviT2_lllT3_lllT4_lT5_li, .Lfunc_end4-_ZL18rocblas_rot_kernelIiLi512EfP16rocblas_bfloat16S1_PKS0_S3_EviT2_lllT3_lllT4_lT5_li
                                        ; -- End function
	.set _ZL18rocblas_rot_kernelIiLi512EfP16rocblas_bfloat16S1_PKS0_S3_EviT2_lllT3_lllT4_lT5_li.num_vgpr, 19
	.set _ZL18rocblas_rot_kernelIiLi512EfP16rocblas_bfloat16S1_PKS0_S3_EviT2_lllT3_lllT4_lT5_li.num_agpr, 0
	.set _ZL18rocblas_rot_kernelIiLi512EfP16rocblas_bfloat16S1_PKS0_S3_EviT2_lllT3_lllT4_lT5_li.numbered_sgpr, 32
	.set _ZL18rocblas_rot_kernelIiLi512EfP16rocblas_bfloat16S1_PKS0_S3_EviT2_lllT3_lllT4_lT5_li.num_named_barrier, 0
	.set _ZL18rocblas_rot_kernelIiLi512EfP16rocblas_bfloat16S1_PKS0_S3_EviT2_lllT3_lllT4_lT5_li.private_seg_size, 0
	.set _ZL18rocblas_rot_kernelIiLi512EfP16rocblas_bfloat16S1_PKS0_S3_EviT2_lllT3_lllT4_lT5_li.uses_vcc, 1
	.set _ZL18rocblas_rot_kernelIiLi512EfP16rocblas_bfloat16S1_PKS0_S3_EviT2_lllT3_lllT4_lT5_li.uses_flat_scratch, 0
	.set _ZL18rocblas_rot_kernelIiLi512EfP16rocblas_bfloat16S1_PKS0_S3_EviT2_lllT3_lllT4_lT5_li.has_dyn_sized_stack, 0
	.set _ZL18rocblas_rot_kernelIiLi512EfP16rocblas_bfloat16S1_PKS0_S3_EviT2_lllT3_lllT4_lT5_li.has_recursion, 0
	.set _ZL18rocblas_rot_kernelIiLi512EfP16rocblas_bfloat16S1_PKS0_S3_EviT2_lllT3_lllT4_lT5_li.has_indirect_call, 0
	.section	.AMDGPU.csdata,"",@progbits
; Kernel info:
; codeLenInByte = 1176
; TotalNumSgprs: 34
; NumVgprs: 19
; ScratchSize: 0
; MemoryBound: 0
; FloatMode: 240
; IeeeMode: 1
; LDSByteSize: 0 bytes/workgroup (compile time only)
; SGPRBlocks: 0
; VGPRBlocks: 1
; NumSGPRsForWavesPerEU: 34
; NumVGPRsForWavesPerEU: 19
; NamedBarCnt: 0
; Occupancy: 16
; WaveLimiterHint : 0
; COMPUTE_PGM_RSRC2:SCRATCH_EN: 0
; COMPUTE_PGM_RSRC2:USER_SGPR: 2
; COMPUTE_PGM_RSRC2:TRAP_HANDLER: 0
; COMPUTE_PGM_RSRC2:TGID_X_EN: 1
; COMPUTE_PGM_RSRC2:TGID_Y_EN: 0
; COMPUTE_PGM_RSRC2:TGID_Z_EN: 1
; COMPUTE_PGM_RSRC2:TIDIG_COMP_CNT: 0
	.section	.text._ZL18rocblas_rot_kernelIiLi512EfP16rocblas_bfloat16S1_S0_S0_EviT2_lllT3_lllT4_lT5_li,"axG",@progbits,_ZL18rocblas_rot_kernelIiLi512EfP16rocblas_bfloat16S1_S0_S0_EviT2_lllT3_lllT4_lT5_li,comdat
	.globl	_ZL18rocblas_rot_kernelIiLi512EfP16rocblas_bfloat16S1_S0_S0_EviT2_lllT3_lllT4_lT5_li ; -- Begin function _ZL18rocblas_rot_kernelIiLi512EfP16rocblas_bfloat16S1_S0_S0_EviT2_lllT3_lllT4_lT5_li
	.p2align	8
	.type	_ZL18rocblas_rot_kernelIiLi512EfP16rocblas_bfloat16S1_S0_S0_EviT2_lllT3_lllT4_lT5_li,@function
_ZL18rocblas_rot_kernelIiLi512EfP16rocblas_bfloat16S1_S0_S0_EviT2_lllT3_lllT4_lT5_li: ; @_ZL18rocblas_rot_kernelIiLi512EfP16rocblas_bfloat16S1_S0_S0_EviT2_lllT3_lllT4_lT5_li
; %bb.0:
	s_load_b32 s20, s[0:1], 0x68
	s_bfe_u32 s2, ttmp6, 0x40014
	s_lshr_b32 s3, ttmp7, 16
	s_add_co_i32 s2, s2, 1
	s_bfe_u32 s4, ttmp6, 0x40008
	s_mul_i32 s2, s3, s2
	s_getreg_b32 s21, hwreg(HW_REG_IB_STS2, 6, 4)
	s_add_co_i32 s4, s4, s2
	s_cmp_eq_u32 s21, 0
	s_cselect_b32 s2, s3, s4
	s_mov_b32 s3, 0
	s_wait_kmcnt 0x0
	s_cmp_ge_u32 s2, s20
	s_cbranch_scc1 .LBB5_29
; %bb.1:
	s_clause 0x2
	s_load_b32 s22, s[0:1], 0x0
	s_load_b512 s[4:19], s[0:1], 0x8
	s_load_b32 s24, s[0:1], 0x7c
	s_bfe_u32 s23, ttmp6, 0x4000c
	s_and_b32 s25, ttmp6, 15
	s_add_co_i32 s23, s23, 1
	v_mov_b32_e32 v1, 0
	s_mul_i32 s23, ttmp9, s23
	s_delay_alu instid0(SALU_CYCLE_1)
	s_add_co_i32 s25, s25, s23
	s_wait_kmcnt 0x0
	s_ashr_i32 s23, s22, 31
	s_lshl_b64 s[6:7], s[6:7], 1
	s_lshl_b64 s[14:15], s[14:15], 1
	s_and_b32 s24, s24, 0xffff
	s_cmp_eq_u32 s21, 0
	s_cselect_b32 s21, ttmp9, s25
	s_delay_alu instid0(SALU_CYCLE_1) | instskip(NEXT) | instid1(VALU_DEP_1)
	v_mad_u32 v0, s21, s24, v0
	v_mul_u64_e32 v[2:3], s[8:9], v[0:1]
	v_mul_u64_e32 v[4:5], s[16:17], v[0:1]
	s_clause 0x1
	s_load_b32 s8, s[0:1], 0x48
	s_load_b32 s9, s[0:1], 0x58
	s_wait_xcnt 0x0
	s_add_nc_u64 s[0:1], s[4:5], s[6:7]
	s_add_nc_u64 s[4:5], s[12:13], s[14:15]
	v_cmp_gt_i64_e32 vcc_lo, s[22:23], v[0:1]
	s_delay_alu instid0(VALU_DEP_3) | instskip(NEXT) | instid1(VALU_DEP_3)
	v_lshl_add_u64 v[0:1], v[2:3], 1, s[0:1]
	v_lshl_add_u64 v[2:3], v[4:5], 1, s[4:5]
	s_wait_kmcnt 0x0
	s_lshl_b32 s1, s8, 16
	s_lshl_b32 s4, s9, 16
	s_branch .LBB5_4
.LBB5_2:                                ;   in Loop: Header=BB5_4 Depth=1
	s_or_b32 exec_lo, exec_lo, s6
	global_store_d16_hi_b16 v[4:5], v6, off
.LBB5_3:                                ;   in Loop: Header=BB5_4 Depth=1
	s_wait_xcnt 0x0
	s_or_b32 exec_lo, exec_lo, s5
	s_add_co_i32 s2, s2, 0x10000
	s_delay_alu instid0(SALU_CYCLE_1)
	s_cmp_lt_u32 s2, s20
	s_cbranch_scc0 .LBB5_29
.LBB5_4:                                ; =>This Inner Loop Header: Depth=1
	s_and_saveexec_b32 s5, vcc_lo
	s_cbranch_execz .LBB5_3
; %bb.5:                                ;   in Loop: Header=BB5_4 Depth=1
	s_mul_u64 s[6:7], s[10:11], s[2:3]
                                        ; implicit-def: $vgpr8
	s_delay_alu instid0(SALU_CYCLE_1) | instskip(SKIP_3) | instid1(VALU_DEP_1)
	v_lshl_add_u64 v[4:5], s[6:7], 1, v[0:1]
	global_load_u16 v6, v[4:5], off
	s_wait_loadcnt 0x0
	v_lshlrev_b32_e32 v10, 16, v6
	v_mul_f32_e32 v6, s1, v10
	s_delay_alu instid0(VALU_DEP_1) | instskip(NEXT) | instid1(VALU_DEP_1)
	v_and_b32_e32 v7, 0x7f800000, v6
	v_cmp_ne_u32_e64 s0, 0x7f800000, v7
	s_wait_xcnt 0x0
	s_and_saveexec_b32 s6, s0
	s_delay_alu instid0(SALU_CYCLE_1)
	s_xor_b32 s0, exec_lo, s6
; %bb.6:                                ;   in Loop: Header=BB5_4 Depth=1
	v_bfe_u32 v7, v6, 16, 1
	s_delay_alu instid0(VALU_DEP_1)
	v_add3_u32 v8, v6, v7, 0x7fff
                                        ; implicit-def: $vgpr6
; %bb.7:                                ;   in Loop: Header=BB5_4 Depth=1
	s_and_not1_saveexec_b32 s6, s0
; %bb.8:                                ;   in Loop: Header=BB5_4 Depth=1
	v_and_b32_e32 v7, 0xffff, v6
	v_or_b32_e32 v8, 0x10000, v6
	s_delay_alu instid0(VALU_DEP_2) | instskip(NEXT) | instid1(VALU_DEP_1)
	v_cmp_eq_u32_e64 s0, 0, v7
	v_cndmask_b32_e64 v8, v8, v6, s0
; %bb.9:                                ;   in Loop: Header=BB5_4 Depth=1
	s_or_b32 exec_lo, exec_lo, s6
	s_mul_u64 s[6:7], s[18:19], s[2:3]
	s_delay_alu instid0(SALU_CYCLE_1) | instskip(SKIP_3) | instid1(VALU_DEP_1)
	v_lshl_add_u64 v[6:7], s[6:7], 1, v[2:3]
	global_load_u16 v9, v[6:7], off
	s_wait_loadcnt 0x0
	v_lshlrev_b32_e32 v11, 16, v9
	v_mul_f32_e32 v12, s4, v11
	s_delay_alu instid0(VALU_DEP_1) | instskip(NEXT) | instid1(VALU_DEP_1)
	v_and_b32_e32 v9, 0x7f800000, v12
	v_cmp_ne_u32_e64 s0, 0x7f800000, v9
                                        ; implicit-def: $vgpr9
	s_wait_xcnt 0x0
	s_and_saveexec_b32 s6, s0
	s_delay_alu instid0(SALU_CYCLE_1)
	s_xor_b32 s0, exec_lo, s6
; %bb.10:                               ;   in Loop: Header=BB5_4 Depth=1
	v_bfe_u32 v9, v12, 16, 1
	s_delay_alu instid0(VALU_DEP_1)
	v_add3_u32 v9, v12, v9, 0x7fff
                                        ; implicit-def: $vgpr12
; %bb.11:                               ;   in Loop: Header=BB5_4 Depth=1
	s_and_not1_saveexec_b32 s6, s0
; %bb.12:                               ;   in Loop: Header=BB5_4 Depth=1
	v_and_b32_e32 v9, 0xffff, v12
	v_or_b32_e32 v13, 0x10000, v12
	s_delay_alu instid0(VALU_DEP_2) | instskip(NEXT) | instid1(VALU_DEP_1)
	v_cmp_eq_u32_e64 s0, 0, v9
	v_cndmask_b32_e64 v9, v13, v12, s0
; %bb.13:                               ;   in Loop: Header=BB5_4 Depth=1
	s_or_b32 exec_lo, exec_lo, s6
	v_mul_f32_e32 v12, s1, v11
	s_delay_alu instid0(VALU_DEP_1) | instskip(NEXT) | instid1(VALU_DEP_1)
	v_and_b32_e32 v11, 0x7f800000, v12
	v_cmp_ne_u32_e64 s0, 0x7f800000, v11
                                        ; implicit-def: $vgpr11
	s_and_saveexec_b32 s6, s0
	s_delay_alu instid0(SALU_CYCLE_1)
	s_xor_b32 s0, exec_lo, s6
; %bb.14:                               ;   in Loop: Header=BB5_4 Depth=1
	v_bfe_u32 v11, v12, 16, 1
	s_delay_alu instid0(VALU_DEP_1)
	v_add3_u32 v11, v12, v11, 0x7fff
                                        ; implicit-def: $vgpr12
; %bb.15:                               ;   in Loop: Header=BB5_4 Depth=1
	s_and_not1_saveexec_b32 s6, s0
; %bb.16:                               ;   in Loop: Header=BB5_4 Depth=1
	v_and_b32_e32 v11, 0xffff, v12
	v_or_b32_e32 v13, 0x10000, v12
	s_delay_alu instid0(VALU_DEP_2) | instskip(NEXT) | instid1(VALU_DEP_1)
	v_cmp_eq_u32_e64 s0, 0, v11
	v_cndmask_b32_e64 v11, v13, v12, s0
; %bb.17:                               ;   in Loop: Header=BB5_4 Depth=1
	s_or_b32 exec_lo, exec_lo, s6
	v_mul_f32_e32 v10, s4, v10
	s_delay_alu instid0(VALU_DEP_1) | instskip(NEXT) | instid1(VALU_DEP_1)
	v_and_b32_e32 v12, 0x7f800000, v10
	v_cmp_ne_u32_e64 s0, 0x7f800000, v12
                                        ; implicit-def: $vgpr12
	s_and_saveexec_b32 s6, s0
	s_delay_alu instid0(SALU_CYCLE_1)
	s_xor_b32 s0, exec_lo, s6
; %bb.18:                               ;   in Loop: Header=BB5_4 Depth=1
	v_bfe_u32 v12, v10, 16, 1
	s_delay_alu instid0(VALU_DEP_1)
	v_add3_u32 v12, v10, v12, 0x7fff
                                        ; implicit-def: $vgpr10
; %bb.19:                               ;   in Loop: Header=BB5_4 Depth=1
	s_and_not1_saveexec_b32 s6, s0
; %bb.20:                               ;   in Loop: Header=BB5_4 Depth=1
	v_and_b32_e32 v12, 0xffff, v10
	v_or_b32_e32 v13, 0x10000, v10
	s_delay_alu instid0(VALU_DEP_2) | instskip(NEXT) | instid1(VALU_DEP_1)
	v_cmp_eq_u32_e64 s0, 0, v12
	v_cndmask_b32_e64 v12, v13, v10, s0
; %bb.21:                               ;   in Loop: Header=BB5_4 Depth=1
	s_or_b32 exec_lo, exec_lo, s6
	v_and_b32_e32 v10, 0xffff0000, v11
	s_delay_alu instid0(VALU_DEP_2) | instskip(NEXT) | instid1(VALU_DEP_1)
	v_and_b32_e32 v11, 0xffff0000, v12
	v_sub_f32_e32 v11, v10, v11
	s_delay_alu instid0(VALU_DEP_1) | instskip(NEXT) | instid1(VALU_DEP_1)
	v_and_b32_e32 v10, 0x7f800000, v11
	v_cmp_ne_u32_e64 s0, 0x7f800000, v10
                                        ; implicit-def: $vgpr10
	s_and_saveexec_b32 s6, s0
	s_delay_alu instid0(SALU_CYCLE_1)
	s_xor_b32 s0, exec_lo, s6
; %bb.22:                               ;   in Loop: Header=BB5_4 Depth=1
	v_bfe_u32 v10, v11, 16, 1
	s_delay_alu instid0(VALU_DEP_1)
	v_add3_u32 v10, v11, v10, 0x7fff
                                        ; implicit-def: $vgpr11
; %bb.23:                               ;   in Loop: Header=BB5_4 Depth=1
	s_and_not1_saveexec_b32 s6, s0
; %bb.24:                               ;   in Loop: Header=BB5_4 Depth=1
	v_and_b32_e32 v10, 0xffff, v11
	v_or_b32_e32 v12, 0x10000, v11
	s_delay_alu instid0(VALU_DEP_2) | instskip(NEXT) | instid1(VALU_DEP_1)
	v_cmp_eq_u32_e64 s0, 0, v10
	v_cndmask_b32_e64 v10, v12, v11, s0
; %bb.25:                               ;   in Loop: Header=BB5_4 Depth=1
	s_or_b32 exec_lo, exec_lo, s6
	v_and_b32_e32 v8, 0xffff0000, v8
	v_and_b32_e32 v9, 0xffff0000, v9
	global_store_d16_hi_b16 v[6:7], v10, off
                                        ; implicit-def: $vgpr6
	v_add_f32_e32 v8, v8, v9
	s_delay_alu instid0(VALU_DEP_1) | instskip(NEXT) | instid1(VALU_DEP_1)
	v_and_b32_e32 v9, 0x7f800000, v8
	v_cmp_ne_u32_e64 s0, 0x7f800000, v9
	s_wait_xcnt 0x0
	s_and_saveexec_b32 s6, s0
	s_delay_alu instid0(SALU_CYCLE_1)
	s_xor_b32 s0, exec_lo, s6
; %bb.26:                               ;   in Loop: Header=BB5_4 Depth=1
	v_bfe_u32 v6, v8, 16, 1
	s_delay_alu instid0(VALU_DEP_1)
	v_add3_u32 v6, v8, v6, 0x7fff
                                        ; implicit-def: $vgpr8
; %bb.27:                               ;   in Loop: Header=BB5_4 Depth=1
	s_and_not1_saveexec_b32 s6, s0
	s_cbranch_execz .LBB5_2
; %bb.28:                               ;   in Loop: Header=BB5_4 Depth=1
	v_and_b32_e32 v6, 0xffff, v8
	v_or_b32_e32 v7, 0x10000, v8
	s_delay_alu instid0(VALU_DEP_2) | instskip(NEXT) | instid1(VALU_DEP_1)
	v_cmp_eq_u32_e64 s0, 0, v6
	v_cndmask_b32_e64 v6, v7, v8, s0
	s_branch .LBB5_2
.LBB5_29:
	s_endpgm
	.section	.rodata,"a",@progbits
	.p2align	6, 0x0
	.amdhsa_kernel _ZL18rocblas_rot_kernelIiLi512EfP16rocblas_bfloat16S1_S0_S0_EviT2_lllT3_lllT4_lT5_li
		.amdhsa_group_segment_fixed_size 0
		.amdhsa_private_segment_fixed_size 0
		.amdhsa_kernarg_size 368
		.amdhsa_user_sgpr_count 2
		.amdhsa_user_sgpr_dispatch_ptr 0
		.amdhsa_user_sgpr_queue_ptr 0
		.amdhsa_user_sgpr_kernarg_segment_ptr 1
		.amdhsa_user_sgpr_dispatch_id 0
		.amdhsa_user_sgpr_kernarg_preload_length 0
		.amdhsa_user_sgpr_kernarg_preload_offset 0
		.amdhsa_user_sgpr_private_segment_size 0
		.amdhsa_wavefront_size32 1
		.amdhsa_uses_dynamic_stack 0
		.amdhsa_enable_private_segment 0
		.amdhsa_system_sgpr_workgroup_id_x 1
		.amdhsa_system_sgpr_workgroup_id_y 0
		.amdhsa_system_sgpr_workgroup_id_z 1
		.amdhsa_system_sgpr_workgroup_info 0
		.amdhsa_system_vgpr_workitem_id 0
		.amdhsa_next_free_vgpr 14
		.amdhsa_next_free_sgpr 26
		.amdhsa_named_barrier_count 0
		.amdhsa_reserve_vcc 1
		.amdhsa_float_round_mode_32 0
		.amdhsa_float_round_mode_16_64 0
		.amdhsa_float_denorm_mode_32 3
		.amdhsa_float_denorm_mode_16_64 3
		.amdhsa_fp16_overflow 0
		.amdhsa_memory_ordered 1
		.amdhsa_forward_progress 1
		.amdhsa_inst_pref_size 9
		.amdhsa_round_robin_scheduling 0
		.amdhsa_exception_fp_ieee_invalid_op 0
		.amdhsa_exception_fp_denorm_src 0
		.amdhsa_exception_fp_ieee_div_zero 0
		.amdhsa_exception_fp_ieee_overflow 0
		.amdhsa_exception_fp_ieee_underflow 0
		.amdhsa_exception_fp_ieee_inexact 0
		.amdhsa_exception_int_div_zero 0
	.end_amdhsa_kernel
	.section	.text._ZL18rocblas_rot_kernelIiLi512EfP16rocblas_bfloat16S1_S0_S0_EviT2_lllT3_lllT4_lT5_li,"axG",@progbits,_ZL18rocblas_rot_kernelIiLi512EfP16rocblas_bfloat16S1_S0_S0_EviT2_lllT3_lllT4_lT5_li,comdat
.Lfunc_end5:
	.size	_ZL18rocblas_rot_kernelIiLi512EfP16rocblas_bfloat16S1_S0_S0_EviT2_lllT3_lllT4_lT5_li, .Lfunc_end5-_ZL18rocblas_rot_kernelIiLi512EfP16rocblas_bfloat16S1_S0_S0_EviT2_lllT3_lllT4_lT5_li
                                        ; -- End function
	.set _ZL18rocblas_rot_kernelIiLi512EfP16rocblas_bfloat16S1_S0_S0_EviT2_lllT3_lllT4_lT5_li.num_vgpr, 14
	.set _ZL18rocblas_rot_kernelIiLi512EfP16rocblas_bfloat16S1_S0_S0_EviT2_lllT3_lllT4_lT5_li.num_agpr, 0
	.set _ZL18rocblas_rot_kernelIiLi512EfP16rocblas_bfloat16S1_S0_S0_EviT2_lllT3_lllT4_lT5_li.numbered_sgpr, 26
	.set _ZL18rocblas_rot_kernelIiLi512EfP16rocblas_bfloat16S1_S0_S0_EviT2_lllT3_lllT4_lT5_li.num_named_barrier, 0
	.set _ZL18rocblas_rot_kernelIiLi512EfP16rocblas_bfloat16S1_S0_S0_EviT2_lllT3_lllT4_lT5_li.private_seg_size, 0
	.set _ZL18rocblas_rot_kernelIiLi512EfP16rocblas_bfloat16S1_S0_S0_EviT2_lllT3_lllT4_lT5_li.uses_vcc, 1
	.set _ZL18rocblas_rot_kernelIiLi512EfP16rocblas_bfloat16S1_S0_S0_EviT2_lllT3_lllT4_lT5_li.uses_flat_scratch, 0
	.set _ZL18rocblas_rot_kernelIiLi512EfP16rocblas_bfloat16S1_S0_S0_EviT2_lllT3_lllT4_lT5_li.has_dyn_sized_stack, 0
	.set _ZL18rocblas_rot_kernelIiLi512EfP16rocblas_bfloat16S1_S0_S0_EviT2_lllT3_lllT4_lT5_li.has_recursion, 0
	.set _ZL18rocblas_rot_kernelIiLi512EfP16rocblas_bfloat16S1_S0_S0_EviT2_lllT3_lllT4_lT5_li.has_indirect_call, 0
	.section	.AMDGPU.csdata,"",@progbits
; Kernel info:
; codeLenInByte = 1092
; TotalNumSgprs: 28
; NumVgprs: 14
; ScratchSize: 0
; MemoryBound: 0
; FloatMode: 240
; IeeeMode: 1
; LDSByteSize: 0 bytes/workgroup (compile time only)
; SGPRBlocks: 0
; VGPRBlocks: 0
; NumSGPRsForWavesPerEU: 28
; NumVGPRsForWavesPerEU: 14
; NamedBarCnt: 0
; Occupancy: 16
; WaveLimiterHint : 0
; COMPUTE_PGM_RSRC2:SCRATCH_EN: 0
; COMPUTE_PGM_RSRC2:USER_SGPR: 2
; COMPUTE_PGM_RSRC2:TRAP_HANDLER: 0
; COMPUTE_PGM_RSRC2:TGID_X_EN: 1
; COMPUTE_PGM_RSRC2:TGID_Y_EN: 0
; COMPUTE_PGM_RSRC2:TGID_Z_EN: 1
; COMPUTE_PGM_RSRC2:TIDIG_COMP_CNT: 0
	.section	.text._ZL18rocblas_rot_kernelIiLi512EfPDF16_S0_PKDF16_S2_EviT2_lllT3_lllT4_lT5_li,"axG",@progbits,_ZL18rocblas_rot_kernelIiLi512EfPDF16_S0_PKDF16_S2_EviT2_lllT3_lllT4_lT5_li,comdat
	.globl	_ZL18rocblas_rot_kernelIiLi512EfPDF16_S0_PKDF16_S2_EviT2_lllT3_lllT4_lT5_li ; -- Begin function _ZL18rocblas_rot_kernelIiLi512EfPDF16_S0_PKDF16_S2_EviT2_lllT3_lllT4_lT5_li
	.p2align	8
	.type	_ZL18rocblas_rot_kernelIiLi512EfPDF16_S0_PKDF16_S2_EviT2_lllT3_lllT4_lT5_li,@function
_ZL18rocblas_rot_kernelIiLi512EfPDF16_S0_PKDF16_S2_EviT2_lllT3_lllT4_lT5_li: ; @_ZL18rocblas_rot_kernelIiLi512EfPDF16_S0_PKDF16_S2_EviT2_lllT3_lllT4_lT5_li
; %bb.0:
	s_load_b32 s28, s[0:1], 0x68
	s_bfe_u32 s2, ttmp6, 0x40014
	s_lshr_b32 s3, ttmp7, 16
	s_add_co_i32 s2, s2, 1
	s_bfe_u32 s4, ttmp6, 0x40008
	s_mul_i32 s2, s3, s2
	s_getreg_b32 s20, hwreg(HW_REG_IB_STS2, 6, 4)
	s_add_co_i32 s4, s4, s2
	s_cmp_eq_u32 s20, 0
	s_cselect_b32 s2, s3, s4
	s_mov_b32 s3, 0
	s_wait_kmcnt 0x0
	s_cmp_ge_u32 s2, s28
	s_cbranch_scc1 .LBB6_5
; %bb.1:
	s_clause 0x2
	s_load_b32 s30, s[0:1], 0x0
	s_load_b512 s[4:19], s[0:1], 0x8
	s_load_b32 s21, s[0:1], 0x7c
	s_bfe_u32 s22, ttmp6, 0x4000c
	s_and_b32 s23, ttmp6, 15
	s_add_co_i32 s22, s22, 1
	v_mov_b32_e32 v1, 0
	s_mul_i32 s22, ttmp9, s22
	s_delay_alu instid0(SALU_CYCLE_1)
	s_add_co_i32 s23, s23, s22
	s_wait_kmcnt 0x0
	s_ashr_i32 s31, s30, 31
	s_lshl_b64 s[6:7], s[6:7], 1
	s_lshl_b64 s[14:15], s[14:15], 1
	s_and_b32 s21, s21, 0xffff
	s_cmp_eq_u32 s20, 0
	s_cselect_b32 s20, ttmp9, s23
	s_delay_alu instid0(SALU_CYCLE_1) | instskip(SKIP_4) | instid1(VALU_DEP_1)
	v_mad_u32 v0, s20, s21, v0
	s_load_b256 s[20:27], s[0:1], 0x48
	s_wait_xcnt 0x0
	s_add_nc_u64 s[0:1], s[4:5], s[6:7]
	s_add_nc_u64 s[4:5], s[12:13], s[14:15]
	v_mul_u64_e32 v[2:3], s[8:9], v[0:1]
	v_mul_u64_e32 v[4:5], s[16:17], v[0:1]
	v_cmp_gt_i64_e32 vcc_lo, s[30:31], v[0:1]
	s_delay_alu instid0(VALU_DEP_3) | instskip(NEXT) | instid1(VALU_DEP_3)
	v_lshl_add_u64 v[2:3], v[2:3], 1, s[0:1]
	v_lshl_add_u64 v[4:5], v[4:5], 1, s[4:5]
	s_branch .LBB6_3
.LBB6_2:                                ;   in Loop: Header=BB6_3 Depth=1
	s_wait_xcnt 0x0
	s_or_b32 exec_lo, exec_lo, s0
	s_add_co_i32 s2, s2, 0x10000
	s_delay_alu instid0(SALU_CYCLE_1)
	s_cmp_lt_u32 s2, s28
	s_cbranch_scc0 .LBB6_5
.LBB6_3:                                ; =>This Inner Loop Header: Depth=1
	s_and_saveexec_b32 s0, vcc_lo
	s_cbranch_execz .LBB6_2
; %bb.4:                                ;   in Loop: Header=BB6_3 Depth=1
	s_wait_kmcnt 0x0
	s_mul_u64 s[4:5], s[26:27], s[2:3]
	s_mul_u64 s[8:9], s[10:11], s[2:3]
	;; [unrolled: 1-line block ×3, first 2 shown]
	s_lshl_b64 s[4:5], s[4:5], 1
	v_lshl_add_u64 v[6:7], s[8:9], 1, v[2:3]
	v_lshl_add_u64 v[8:9], s[6:7], 1, v[4:5]
	s_add_nc_u64 s[4:5], s[24:25], s[4:5]
	s_mul_u64 s[6:7], s[22:23], s[2:3]
	global_load_u16 v0, v1, s[4:5]
	s_wait_xcnt 0x0
	s_lshl_b64 s[4:5], s[6:7], 1
	global_load_u16 v10, v[6:7], off
	global_load_u16 v11, v[8:9], off
	s_add_nc_u64 s[4:5], s[20:21], s[4:5]
	global_load_u16 v12, v1, s[4:5]
	s_wait_loadcnt 0x2
	v_mul_f16_e32 v13, v0, v10
	s_wait_loadcnt 0x1
	v_mul_f16_e32 v0, v0, v11
	s_wait_loadcnt 0x0
	s_delay_alu instid0(VALU_DEP_2) | instskip(NEXT) | instid1(VALU_DEP_2)
	v_fma_f16 v11, v12, v11, -v13
	v_fmac_f16_e32 v0, v12, v10
	global_store_b16 v[8:9], v11, off
	global_store_b16 v[6:7], v0, off
	s_branch .LBB6_2
.LBB6_5:
	s_endpgm
	.section	.rodata,"a",@progbits
	.p2align	6, 0x0
	.amdhsa_kernel _ZL18rocblas_rot_kernelIiLi512EfPDF16_S0_PKDF16_S2_EviT2_lllT3_lllT4_lT5_li
		.amdhsa_group_segment_fixed_size 0
		.amdhsa_private_segment_fixed_size 0
		.amdhsa_kernarg_size 368
		.amdhsa_user_sgpr_count 2
		.amdhsa_user_sgpr_dispatch_ptr 0
		.amdhsa_user_sgpr_queue_ptr 0
		.amdhsa_user_sgpr_kernarg_segment_ptr 1
		.amdhsa_user_sgpr_dispatch_id 0
		.amdhsa_user_sgpr_kernarg_preload_length 0
		.amdhsa_user_sgpr_kernarg_preload_offset 0
		.amdhsa_user_sgpr_private_segment_size 0
		.amdhsa_wavefront_size32 1
		.amdhsa_uses_dynamic_stack 0
		.amdhsa_enable_private_segment 0
		.amdhsa_system_sgpr_workgroup_id_x 1
		.amdhsa_system_sgpr_workgroup_id_y 0
		.amdhsa_system_sgpr_workgroup_id_z 1
		.amdhsa_system_sgpr_workgroup_info 0
		.amdhsa_system_vgpr_workitem_id 0
		.amdhsa_next_free_vgpr 14
		.amdhsa_next_free_sgpr 32
		.amdhsa_named_barrier_count 0
		.amdhsa_reserve_vcc 1
		.amdhsa_float_round_mode_32 0
		.amdhsa_float_round_mode_16_64 0
		.amdhsa_float_denorm_mode_32 3
		.amdhsa_float_denorm_mode_16_64 3
		.amdhsa_fp16_overflow 0
		.amdhsa_memory_ordered 1
		.amdhsa_forward_progress 1
		.amdhsa_inst_pref_size 4
		.amdhsa_round_robin_scheduling 0
		.amdhsa_exception_fp_ieee_invalid_op 0
		.amdhsa_exception_fp_denorm_src 0
		.amdhsa_exception_fp_ieee_div_zero 0
		.amdhsa_exception_fp_ieee_overflow 0
		.amdhsa_exception_fp_ieee_underflow 0
		.amdhsa_exception_fp_ieee_inexact 0
		.amdhsa_exception_int_div_zero 0
	.end_amdhsa_kernel
	.section	.text._ZL18rocblas_rot_kernelIiLi512EfPDF16_S0_PKDF16_S2_EviT2_lllT3_lllT4_lT5_li,"axG",@progbits,_ZL18rocblas_rot_kernelIiLi512EfPDF16_S0_PKDF16_S2_EviT2_lllT3_lllT4_lT5_li,comdat
.Lfunc_end6:
	.size	_ZL18rocblas_rot_kernelIiLi512EfPDF16_S0_PKDF16_S2_EviT2_lllT3_lllT4_lT5_li, .Lfunc_end6-_ZL18rocblas_rot_kernelIiLi512EfPDF16_S0_PKDF16_S2_EviT2_lllT3_lllT4_lT5_li
                                        ; -- End function
	.set _ZL18rocblas_rot_kernelIiLi512EfPDF16_S0_PKDF16_S2_EviT2_lllT3_lllT4_lT5_li.num_vgpr, 14
	.set _ZL18rocblas_rot_kernelIiLi512EfPDF16_S0_PKDF16_S2_EviT2_lllT3_lllT4_lT5_li.num_agpr, 0
	.set _ZL18rocblas_rot_kernelIiLi512EfPDF16_S0_PKDF16_S2_EviT2_lllT3_lllT4_lT5_li.numbered_sgpr, 32
	.set _ZL18rocblas_rot_kernelIiLi512EfPDF16_S0_PKDF16_S2_EviT2_lllT3_lllT4_lT5_li.num_named_barrier, 0
	.set _ZL18rocblas_rot_kernelIiLi512EfPDF16_S0_PKDF16_S2_EviT2_lllT3_lllT4_lT5_li.private_seg_size, 0
	.set _ZL18rocblas_rot_kernelIiLi512EfPDF16_S0_PKDF16_S2_EviT2_lllT3_lllT4_lT5_li.uses_vcc, 1
	.set _ZL18rocblas_rot_kernelIiLi512EfPDF16_S0_PKDF16_S2_EviT2_lllT3_lllT4_lT5_li.uses_flat_scratch, 0
	.set _ZL18rocblas_rot_kernelIiLi512EfPDF16_S0_PKDF16_S2_EviT2_lllT3_lllT4_lT5_li.has_dyn_sized_stack, 0
	.set _ZL18rocblas_rot_kernelIiLi512EfPDF16_S0_PKDF16_S2_EviT2_lllT3_lllT4_lT5_li.has_recursion, 0
	.set _ZL18rocblas_rot_kernelIiLi512EfPDF16_S0_PKDF16_S2_EviT2_lllT3_lllT4_lT5_li.has_indirect_call, 0
	.section	.AMDGPU.csdata,"",@progbits
; Kernel info:
; codeLenInByte = 436
; TotalNumSgprs: 34
; NumVgprs: 14
; ScratchSize: 0
; MemoryBound: 0
; FloatMode: 240
; IeeeMode: 1
; LDSByteSize: 0 bytes/workgroup (compile time only)
; SGPRBlocks: 0
; VGPRBlocks: 0
; NumSGPRsForWavesPerEU: 34
; NumVGPRsForWavesPerEU: 14
; NamedBarCnt: 0
; Occupancy: 16
; WaveLimiterHint : 0
; COMPUTE_PGM_RSRC2:SCRATCH_EN: 0
; COMPUTE_PGM_RSRC2:USER_SGPR: 2
; COMPUTE_PGM_RSRC2:TRAP_HANDLER: 0
; COMPUTE_PGM_RSRC2:TGID_X_EN: 1
; COMPUTE_PGM_RSRC2:TGID_Y_EN: 0
; COMPUTE_PGM_RSRC2:TGID_Z_EN: 1
; COMPUTE_PGM_RSRC2:TIDIG_COMP_CNT: 0
	.section	.text._ZL18rocblas_rot_kernelIiLi512EfPDF16_S0_DF16_DF16_EviT2_lllT3_lllT4_lT5_li,"axG",@progbits,_ZL18rocblas_rot_kernelIiLi512EfPDF16_S0_DF16_DF16_EviT2_lllT3_lllT4_lT5_li,comdat
	.globl	_ZL18rocblas_rot_kernelIiLi512EfPDF16_S0_DF16_DF16_EviT2_lllT3_lllT4_lT5_li ; -- Begin function _ZL18rocblas_rot_kernelIiLi512EfPDF16_S0_DF16_DF16_EviT2_lllT3_lllT4_lT5_li
	.p2align	8
	.type	_ZL18rocblas_rot_kernelIiLi512EfPDF16_S0_DF16_DF16_EviT2_lllT3_lllT4_lT5_li,@function
_ZL18rocblas_rot_kernelIiLi512EfPDF16_S0_DF16_DF16_EviT2_lllT3_lllT4_lT5_li: ; @_ZL18rocblas_rot_kernelIiLi512EfPDF16_S0_DF16_DF16_EviT2_lllT3_lllT4_lT5_li
; %bb.0:
	s_load_b32 s20, s[0:1], 0x68
	s_bfe_u32 s2, ttmp6, 0x40014
	s_lshr_b32 s3, ttmp7, 16
	s_add_co_i32 s2, s2, 1
	s_bfe_u32 s4, ttmp6, 0x40008
	s_mul_i32 s2, s3, s2
	s_getreg_b32 s21, hwreg(HW_REG_IB_STS2, 6, 4)
	s_add_co_i32 s4, s4, s2
	s_cmp_eq_u32 s21, 0
	s_cselect_b32 s2, s3, s4
	s_mov_b32 s3, 0
	s_wait_kmcnt 0x0
	s_cmp_ge_u32 s2, s20
	s_cbranch_scc1 .LBB7_5
; %bb.1:
	s_clause 0x2
	s_load_b32 s22, s[0:1], 0x0
	s_load_b512 s[4:19], s[0:1], 0x8
	s_load_b32 s26, s[0:1], 0x7c
	s_bfe_u32 s23, ttmp6, 0x4000c
	s_and_b32 s24, ttmp6, 15
	s_add_co_i32 s23, s23, 1
	v_mov_b32_e32 v1, 0
	s_mul_i32 s23, ttmp9, s23
	s_delay_alu instid0(SALU_CYCLE_1)
	s_add_co_i32 s27, s24, s23
	s_wait_kmcnt 0x0
	s_ashr_i32 s23, s22, 31
	s_lshl_b64 s[24:25], s[6:7], 1
	s_lshl_b64 s[14:15], s[14:15], 1
	s_and_b32 s6, s26, 0xffff
	s_cmp_eq_u32 s21, 0
	s_cselect_b32 s7, ttmp9, s27
	s_delay_alu instid0(SALU_CYCLE_1)
	v_mad_u32 v0, s7, s6, v0
	s_clause 0x1
	s_load_b32 s6, s[0:1], 0x48
	s_load_b32 s7, s[0:1], 0x58
	s_wait_xcnt 0x0
	s_add_nc_u64 s[0:1], s[4:5], s[24:25]
	s_add_nc_u64 s[4:5], s[12:13], s[14:15]
	s_delay_alu instid0(VALU_DEP_1) | instskip(SKIP_2) | instid1(VALU_DEP_3)
	v_mul_u64_e32 v[2:3], s[8:9], v[0:1]
	v_mul_u64_e32 v[4:5], s[16:17], v[0:1]
	v_cmp_gt_i64_e32 vcc_lo, s[22:23], v[0:1]
	v_lshl_add_u64 v[0:1], v[2:3], 1, s[0:1]
	s_delay_alu instid0(VALU_DEP_3)
	v_lshl_add_u64 v[2:3], v[4:5], 1, s[4:5]
	s_branch .LBB7_3
.LBB7_2:                                ;   in Loop: Header=BB7_3 Depth=1
	s_wait_xcnt 0x0
	s_or_b32 exec_lo, exec_lo, s0
	s_add_co_i32 s2, s2, 0x10000
	s_delay_alu instid0(SALU_CYCLE_1)
	s_cmp_lt_u32 s2, s20
	s_cbranch_scc0 .LBB7_5
.LBB7_3:                                ; =>This Inner Loop Header: Depth=1
	s_and_saveexec_b32 s0, vcc_lo
	s_cbranch_execz .LBB7_2
; %bb.4:                                ;   in Loop: Header=BB7_3 Depth=1
	s_mul_u64 s[4:5], s[10:11], s[2:3]
	s_mul_u64 s[8:9], s[18:19], s[2:3]
	v_lshl_add_u64 v[4:5], s[4:5], 1, v[0:1]
	v_lshl_add_u64 v[6:7], s[8:9], 1, v[2:3]
	global_load_u16 v8, v[4:5], off
	global_load_u16 v9, v[6:7], off
	s_wait_loadcnt 0x1
	s_wait_kmcnt 0x0
	v_mul_f16_e32 v10, s7, v8
	s_wait_loadcnt 0x0
	v_mul_f16_e32 v11, s7, v9
	s_delay_alu instid0(VALU_DEP_2) | instskip(NEXT) | instid1(VALU_DEP_2)
	v_fma_f16 v9, s6, v9, -v10
	v_fmac_f16_e32 v11, s6, v8
	global_store_b16 v[6:7], v9, off
	global_store_b16 v[4:5], v11, off
	s_branch .LBB7_2
.LBB7_5:
	s_endpgm
	.section	.rodata,"a",@progbits
	.p2align	6, 0x0
	.amdhsa_kernel _ZL18rocblas_rot_kernelIiLi512EfPDF16_S0_DF16_DF16_EviT2_lllT3_lllT4_lT5_li
		.amdhsa_group_segment_fixed_size 0
		.amdhsa_private_segment_fixed_size 0
		.amdhsa_kernarg_size 368
		.amdhsa_user_sgpr_count 2
		.amdhsa_user_sgpr_dispatch_ptr 0
		.amdhsa_user_sgpr_queue_ptr 0
		.amdhsa_user_sgpr_kernarg_segment_ptr 1
		.amdhsa_user_sgpr_dispatch_id 0
		.amdhsa_user_sgpr_kernarg_preload_length 0
		.amdhsa_user_sgpr_kernarg_preload_offset 0
		.amdhsa_user_sgpr_private_segment_size 0
		.amdhsa_wavefront_size32 1
		.amdhsa_uses_dynamic_stack 0
		.amdhsa_enable_private_segment 0
		.amdhsa_system_sgpr_workgroup_id_x 1
		.amdhsa_system_sgpr_workgroup_id_y 0
		.amdhsa_system_sgpr_workgroup_id_z 1
		.amdhsa_system_sgpr_workgroup_info 0
		.amdhsa_system_vgpr_workitem_id 0
		.amdhsa_next_free_vgpr 12
		.amdhsa_next_free_sgpr 28
		.amdhsa_named_barrier_count 0
		.amdhsa_reserve_vcc 1
		.amdhsa_float_round_mode_32 0
		.amdhsa_float_round_mode_16_64 0
		.amdhsa_float_denorm_mode_32 3
		.amdhsa_float_denorm_mode_16_64 3
		.amdhsa_fp16_overflow 0
		.amdhsa_memory_ordered 1
		.amdhsa_forward_progress 1
		.amdhsa_inst_pref_size 4
		.amdhsa_round_robin_scheduling 0
		.amdhsa_exception_fp_ieee_invalid_op 0
		.amdhsa_exception_fp_denorm_src 0
		.amdhsa_exception_fp_ieee_div_zero 0
		.amdhsa_exception_fp_ieee_overflow 0
		.amdhsa_exception_fp_ieee_underflow 0
		.amdhsa_exception_fp_ieee_inexact 0
		.amdhsa_exception_int_div_zero 0
	.end_amdhsa_kernel
	.section	.text._ZL18rocblas_rot_kernelIiLi512EfPDF16_S0_DF16_DF16_EviT2_lllT3_lllT4_lT5_li,"axG",@progbits,_ZL18rocblas_rot_kernelIiLi512EfPDF16_S0_DF16_DF16_EviT2_lllT3_lllT4_lT5_li,comdat
.Lfunc_end7:
	.size	_ZL18rocblas_rot_kernelIiLi512EfPDF16_S0_DF16_DF16_EviT2_lllT3_lllT4_lT5_li, .Lfunc_end7-_ZL18rocblas_rot_kernelIiLi512EfPDF16_S0_DF16_DF16_EviT2_lllT3_lllT4_lT5_li
                                        ; -- End function
	.set _ZL18rocblas_rot_kernelIiLi512EfPDF16_S0_DF16_DF16_EviT2_lllT3_lllT4_lT5_li.num_vgpr, 12
	.set _ZL18rocblas_rot_kernelIiLi512EfPDF16_S0_DF16_DF16_EviT2_lllT3_lllT4_lT5_li.num_agpr, 0
	.set _ZL18rocblas_rot_kernelIiLi512EfPDF16_S0_DF16_DF16_EviT2_lllT3_lllT4_lT5_li.numbered_sgpr, 28
	.set _ZL18rocblas_rot_kernelIiLi512EfPDF16_S0_DF16_DF16_EviT2_lllT3_lllT4_lT5_li.num_named_barrier, 0
	.set _ZL18rocblas_rot_kernelIiLi512EfPDF16_S0_DF16_DF16_EviT2_lllT3_lllT4_lT5_li.private_seg_size, 0
	.set _ZL18rocblas_rot_kernelIiLi512EfPDF16_S0_DF16_DF16_EviT2_lllT3_lllT4_lT5_li.uses_vcc, 1
	.set _ZL18rocblas_rot_kernelIiLi512EfPDF16_S0_DF16_DF16_EviT2_lllT3_lllT4_lT5_li.uses_flat_scratch, 0
	.set _ZL18rocblas_rot_kernelIiLi512EfPDF16_S0_DF16_DF16_EviT2_lllT3_lllT4_lT5_li.has_dyn_sized_stack, 0
	.set _ZL18rocblas_rot_kernelIiLi512EfPDF16_S0_DF16_DF16_EviT2_lllT3_lllT4_lT5_li.has_recursion, 0
	.set _ZL18rocblas_rot_kernelIiLi512EfPDF16_S0_DF16_DF16_EviT2_lllT3_lllT4_lT5_li.has_indirect_call, 0
	.section	.AMDGPU.csdata,"",@progbits
; Kernel info:
; codeLenInByte = 396
; TotalNumSgprs: 30
; NumVgprs: 12
; ScratchSize: 0
; MemoryBound: 0
; FloatMode: 240
; IeeeMode: 1
; LDSByteSize: 0 bytes/workgroup (compile time only)
; SGPRBlocks: 0
; VGPRBlocks: 0
; NumSGPRsForWavesPerEU: 30
; NumVGPRsForWavesPerEU: 12
; NamedBarCnt: 0
; Occupancy: 16
; WaveLimiterHint : 0
; COMPUTE_PGM_RSRC2:SCRATCH_EN: 0
; COMPUTE_PGM_RSRC2:USER_SGPR: 2
; COMPUTE_PGM_RSRC2:TRAP_HANDLER: 0
; COMPUTE_PGM_RSRC2:TGID_X_EN: 1
; COMPUTE_PGM_RSRC2:TGID_Y_EN: 0
; COMPUTE_PGM_RSRC2:TGID_Z_EN: 1
; COMPUTE_PGM_RSRC2:TIDIG_COMP_CNT: 0
	.section	.text._ZL18rocblas_rot_kernelIiLi512E19rocblas_complex_numIfEPS1_S2_PKfS4_EviT2_lllT3_lllT4_lT5_li,"axG",@progbits,_ZL18rocblas_rot_kernelIiLi512E19rocblas_complex_numIfEPS1_S2_PKfS4_EviT2_lllT3_lllT4_lT5_li,comdat
	.globl	_ZL18rocblas_rot_kernelIiLi512E19rocblas_complex_numIfEPS1_S2_PKfS4_EviT2_lllT3_lllT4_lT5_li ; -- Begin function _ZL18rocblas_rot_kernelIiLi512E19rocblas_complex_numIfEPS1_S2_PKfS4_EviT2_lllT3_lllT4_lT5_li
	.p2align	8
	.type	_ZL18rocblas_rot_kernelIiLi512E19rocblas_complex_numIfEPS1_S2_PKfS4_EviT2_lllT3_lllT4_lT5_li,@function
_ZL18rocblas_rot_kernelIiLi512E19rocblas_complex_numIfEPS1_S2_PKfS4_EviT2_lllT3_lllT4_lT5_li: ; @_ZL18rocblas_rot_kernelIiLi512E19rocblas_complex_numIfEPS1_S2_PKfS4_EviT2_lllT3_lllT4_lT5_li
; %bb.0:
	s_load_b32 s28, s[0:1], 0x68
	s_bfe_u32 s2, ttmp6, 0x40014
	s_lshr_b32 s3, ttmp7, 16
	s_add_co_i32 s2, s2, 1
	s_bfe_u32 s4, ttmp6, 0x40008
	s_mul_i32 s2, s3, s2
	s_getreg_b32 s20, hwreg(HW_REG_IB_STS2, 6, 4)
	s_add_co_i32 s4, s4, s2
	s_cmp_eq_u32 s20, 0
	s_cselect_b32 s2, s3, s4
	s_mov_b32 s3, 0
	s_wait_kmcnt 0x0
	s_cmp_ge_u32 s2, s28
	s_cbranch_scc1 .LBB8_5
; %bb.1:
	s_clause 0x2
	s_load_b32 s30, s[0:1], 0x0
	s_load_b512 s[4:19], s[0:1], 0x8
	s_load_b32 s21, s[0:1], 0x7c
	s_bfe_u32 s22, ttmp6, 0x4000c
	s_and_b32 s23, ttmp6, 15
	s_add_co_i32 s22, s22, 1
	v_mov_b32_e32 v1, 0
	s_mul_i32 s22, ttmp9, s22
	s_delay_alu instid0(SALU_CYCLE_1)
	s_add_co_i32 s23, s23, s22
	s_wait_kmcnt 0x0
	s_ashr_i32 s31, s30, 31
	s_lshl_b64 s[6:7], s[6:7], 3
	s_lshl_b64 s[14:15], s[14:15], 3
	s_and_b32 s21, s21, 0xffff
	s_cmp_eq_u32 s20, 0
	s_cselect_b32 s20, ttmp9, s23
	s_delay_alu instid0(SALU_CYCLE_1) | instskip(SKIP_4) | instid1(VALU_DEP_1)
	v_mad_u32 v0, s20, s21, v0
	s_load_b256 s[20:27], s[0:1], 0x48
	s_wait_xcnt 0x0
	s_add_nc_u64 s[0:1], s[4:5], s[6:7]
	s_add_nc_u64 s[4:5], s[12:13], s[14:15]
	v_mul_u64_e32 v[2:3], s[8:9], v[0:1]
	v_mul_u64_e32 v[4:5], s[16:17], v[0:1]
	v_cmp_gt_i64_e32 vcc_lo, s[30:31], v[0:1]
	s_delay_alu instid0(VALU_DEP_3) | instskip(NEXT) | instid1(VALU_DEP_3)
	v_lshl_add_u64 v[2:3], v[2:3], 3, s[0:1]
	v_lshl_add_u64 v[4:5], v[4:5], 3, s[4:5]
	s_branch .LBB8_3
.LBB8_2:                                ;   in Loop: Header=BB8_3 Depth=1
	s_wait_xcnt 0x0
	s_or_b32 exec_lo, exec_lo, s0
	s_add_co_i32 s2, s2, 0x10000
	s_delay_alu instid0(SALU_CYCLE_1)
	s_cmp_lt_u32 s2, s28
	s_cbranch_scc0 .LBB8_5
.LBB8_3:                                ; =>This Inner Loop Header: Depth=1
	s_and_saveexec_b32 s0, vcc_lo
	s_cbranch_execz .LBB8_2
; %bb.4:                                ;   in Loop: Header=BB8_3 Depth=1
	s_wait_kmcnt 0x0
	s_mul_u64 s[4:5], s[26:27], s[2:3]
	s_mul_u64 s[8:9], s[10:11], s[2:3]
	;; [unrolled: 1-line block ×3, first 2 shown]
	s_lshl_b64 s[4:5], s[4:5], 2
	v_lshl_add_u64 v[6:7], s[8:9], 3, v[2:3]
	v_lshl_add_u64 v[8:9], s[6:7], 3, v[4:5]
	s_add_nc_u64 s[4:5], s[24:25], s[4:5]
	s_mul_u64 s[6:7], s[22:23], s[2:3]
	global_load_b32 v0, v1, s[4:5]
	s_wait_xcnt 0x0
	s_lshl_b64 s[4:5], s[6:7], 2
	global_load_b64 v[10:11], v[6:7], off
	global_load_b64 v[12:13], v[8:9], off
	s_add_nc_u64 s[4:5], s[20:21], s[4:5]
	global_load_b32 v14, v1, s[4:5]
	s_wait_loadcnt 0x2
	v_pk_mul_f32 v[16:17], v[0:1], v[10:11] op_sel_hi:[0,1]
	s_wait_loadcnt 0x1
	v_pk_mul_f32 v[18:19], v[0:1], v[12:13] op_sel_hi:[0,1]
	s_wait_loadcnt 0x0
	s_delay_alu instid0(VALU_DEP_2) | instskip(NEXT) | instid1(VALU_DEP_2)
	v_pk_fma_f32 v[12:13], v[14:15], v[12:13], v[16:17] op_sel_hi:[0,1,1] neg_lo:[0,0,1] neg_hi:[0,0,1]
	v_pk_fma_f32 v[10:11], v[14:15], v[10:11], v[18:19] op_sel_hi:[0,1,1]
	global_store_b64 v[8:9], v[12:13], off
	global_store_b64 v[6:7], v[10:11], off
	s_branch .LBB8_2
.LBB8_5:
	s_endpgm
	.section	.rodata,"a",@progbits
	.p2align	6, 0x0
	.amdhsa_kernel _ZL18rocblas_rot_kernelIiLi512E19rocblas_complex_numIfEPS1_S2_PKfS4_EviT2_lllT3_lllT4_lT5_li
		.amdhsa_group_segment_fixed_size 0
		.amdhsa_private_segment_fixed_size 0
		.amdhsa_kernarg_size 368
		.amdhsa_user_sgpr_count 2
		.amdhsa_user_sgpr_dispatch_ptr 0
		.amdhsa_user_sgpr_queue_ptr 0
		.amdhsa_user_sgpr_kernarg_segment_ptr 1
		.amdhsa_user_sgpr_dispatch_id 0
		.amdhsa_user_sgpr_kernarg_preload_length 0
		.amdhsa_user_sgpr_kernarg_preload_offset 0
		.amdhsa_user_sgpr_private_segment_size 0
		.amdhsa_wavefront_size32 1
		.amdhsa_uses_dynamic_stack 0
		.amdhsa_enable_private_segment 0
		.amdhsa_system_sgpr_workgroup_id_x 1
		.amdhsa_system_sgpr_workgroup_id_y 0
		.amdhsa_system_sgpr_workgroup_id_z 1
		.amdhsa_system_sgpr_workgroup_info 0
		.amdhsa_system_vgpr_workitem_id 0
		.amdhsa_next_free_vgpr 20
		.amdhsa_next_free_sgpr 32
		.amdhsa_named_barrier_count 0
		.amdhsa_reserve_vcc 1
		.amdhsa_float_round_mode_32 0
		.amdhsa_float_round_mode_16_64 0
		.amdhsa_float_denorm_mode_32 3
		.amdhsa_float_denorm_mode_16_64 3
		.amdhsa_fp16_overflow 0
		.amdhsa_memory_ordered 1
		.amdhsa_forward_progress 1
		.amdhsa_inst_pref_size 4
		.amdhsa_round_robin_scheduling 0
		.amdhsa_exception_fp_ieee_invalid_op 0
		.amdhsa_exception_fp_denorm_src 0
		.amdhsa_exception_fp_ieee_div_zero 0
		.amdhsa_exception_fp_ieee_overflow 0
		.amdhsa_exception_fp_ieee_underflow 0
		.amdhsa_exception_fp_ieee_inexact 0
		.amdhsa_exception_int_div_zero 0
	.end_amdhsa_kernel
	.section	.text._ZL18rocblas_rot_kernelIiLi512E19rocblas_complex_numIfEPS1_S2_PKfS4_EviT2_lllT3_lllT4_lT5_li,"axG",@progbits,_ZL18rocblas_rot_kernelIiLi512E19rocblas_complex_numIfEPS1_S2_PKfS4_EviT2_lllT3_lllT4_lT5_li,comdat
.Lfunc_end8:
	.size	_ZL18rocblas_rot_kernelIiLi512E19rocblas_complex_numIfEPS1_S2_PKfS4_EviT2_lllT3_lllT4_lT5_li, .Lfunc_end8-_ZL18rocblas_rot_kernelIiLi512E19rocblas_complex_numIfEPS1_S2_PKfS4_EviT2_lllT3_lllT4_lT5_li
                                        ; -- End function
	.set _ZL18rocblas_rot_kernelIiLi512E19rocblas_complex_numIfEPS1_S2_PKfS4_EviT2_lllT3_lllT4_lT5_li.num_vgpr, 20
	.set _ZL18rocblas_rot_kernelIiLi512E19rocblas_complex_numIfEPS1_S2_PKfS4_EviT2_lllT3_lllT4_lT5_li.num_agpr, 0
	.set _ZL18rocblas_rot_kernelIiLi512E19rocblas_complex_numIfEPS1_S2_PKfS4_EviT2_lllT3_lllT4_lT5_li.numbered_sgpr, 32
	.set _ZL18rocblas_rot_kernelIiLi512E19rocblas_complex_numIfEPS1_S2_PKfS4_EviT2_lllT3_lllT4_lT5_li.num_named_barrier, 0
	.set _ZL18rocblas_rot_kernelIiLi512E19rocblas_complex_numIfEPS1_S2_PKfS4_EviT2_lllT3_lllT4_lT5_li.private_seg_size, 0
	.set _ZL18rocblas_rot_kernelIiLi512E19rocblas_complex_numIfEPS1_S2_PKfS4_EviT2_lllT3_lllT4_lT5_li.uses_vcc, 1
	.set _ZL18rocblas_rot_kernelIiLi512E19rocblas_complex_numIfEPS1_S2_PKfS4_EviT2_lllT3_lllT4_lT5_li.uses_flat_scratch, 0
	.set _ZL18rocblas_rot_kernelIiLi512E19rocblas_complex_numIfEPS1_S2_PKfS4_EviT2_lllT3_lllT4_lT5_li.has_dyn_sized_stack, 0
	.set _ZL18rocblas_rot_kernelIiLi512E19rocblas_complex_numIfEPS1_S2_PKfS4_EviT2_lllT3_lllT4_lT5_li.has_recursion, 0
	.set _ZL18rocblas_rot_kernelIiLi512E19rocblas_complex_numIfEPS1_S2_PKfS4_EviT2_lllT3_lllT4_lT5_li.has_indirect_call, 0
	.section	.AMDGPU.csdata,"",@progbits
; Kernel info:
; codeLenInByte = 448
; TotalNumSgprs: 34
; NumVgprs: 20
; ScratchSize: 0
; MemoryBound: 0
; FloatMode: 240
; IeeeMode: 1
; LDSByteSize: 0 bytes/workgroup (compile time only)
; SGPRBlocks: 0
; VGPRBlocks: 1
; NumSGPRsForWavesPerEU: 34
; NumVGPRsForWavesPerEU: 20
; NamedBarCnt: 0
; Occupancy: 16
; WaveLimiterHint : 0
; COMPUTE_PGM_RSRC2:SCRATCH_EN: 0
; COMPUTE_PGM_RSRC2:USER_SGPR: 2
; COMPUTE_PGM_RSRC2:TRAP_HANDLER: 0
; COMPUTE_PGM_RSRC2:TGID_X_EN: 1
; COMPUTE_PGM_RSRC2:TGID_Y_EN: 0
; COMPUTE_PGM_RSRC2:TGID_Z_EN: 1
; COMPUTE_PGM_RSRC2:TIDIG_COMP_CNT: 0
	.section	.text._ZL18rocblas_rot_kernelIiLi512E19rocblas_complex_numIfEPS1_S2_ffEviT2_lllT3_lllT4_lT5_li,"axG",@progbits,_ZL18rocblas_rot_kernelIiLi512E19rocblas_complex_numIfEPS1_S2_ffEviT2_lllT3_lllT4_lT5_li,comdat
	.globl	_ZL18rocblas_rot_kernelIiLi512E19rocblas_complex_numIfEPS1_S2_ffEviT2_lllT3_lllT4_lT5_li ; -- Begin function _ZL18rocblas_rot_kernelIiLi512E19rocblas_complex_numIfEPS1_S2_ffEviT2_lllT3_lllT4_lT5_li
	.p2align	8
	.type	_ZL18rocblas_rot_kernelIiLi512E19rocblas_complex_numIfEPS1_S2_ffEviT2_lllT3_lllT4_lT5_li,@function
_ZL18rocblas_rot_kernelIiLi512E19rocblas_complex_numIfEPS1_S2_ffEviT2_lllT3_lllT4_lT5_li: ; @_ZL18rocblas_rot_kernelIiLi512E19rocblas_complex_numIfEPS1_S2_ffEviT2_lllT3_lllT4_lT5_li
; %bb.0:
	s_load_b32 s20, s[0:1], 0x68
	s_bfe_u32 s2, ttmp6, 0x40014
	s_lshr_b32 s3, ttmp7, 16
	s_add_co_i32 s2, s2, 1
	s_bfe_u32 s4, ttmp6, 0x40008
	s_mul_i32 s2, s3, s2
	s_getreg_b32 s21, hwreg(HW_REG_IB_STS2, 6, 4)
	s_add_co_i32 s4, s4, s2
	s_cmp_eq_u32 s21, 0
	s_cselect_b32 s2, s3, s4
	s_mov_b32 s3, 0
	s_wait_kmcnt 0x0
	s_cmp_ge_u32 s2, s20
	s_cbranch_scc1 .LBB9_5
; %bb.1:
	s_clause 0x2
	s_load_b32 s22, s[0:1], 0x0
	s_load_b512 s[4:19], s[0:1], 0x8
	s_load_b32 s26, s[0:1], 0x7c
	s_bfe_u32 s23, ttmp6, 0x4000c
	s_and_b32 s24, ttmp6, 15
	s_add_co_i32 s23, s23, 1
	v_mov_b32_e32 v1, 0
	s_mul_i32 s23, ttmp9, s23
	s_delay_alu instid0(SALU_CYCLE_1)
	s_add_co_i32 s27, s24, s23
	s_wait_kmcnt 0x0
	s_ashr_i32 s23, s22, 31
	s_lshl_b64 s[24:25], s[6:7], 3
	s_lshl_b64 s[14:15], s[14:15], 3
	s_and_b32 s6, s26, 0xffff
	s_cmp_eq_u32 s21, 0
	s_cselect_b32 s7, ttmp9, s27
	s_delay_alu instid0(SALU_CYCLE_1) | instskip(NEXT) | instid1(VALU_DEP_1)
	v_mad_u32 v0, s7, s6, v0
	v_mul_u64_e32 v[2:3], s[8:9], v[0:1]
	v_mul_u64_e32 v[4:5], s[16:17], v[0:1]
	s_clause 0x1
	s_load_b32 s6, s[0:1], 0x48
	s_load_b32 s8, s[0:1], 0x58
	s_wait_xcnt 0x0
	s_add_nc_u64 s[0:1], s[4:5], s[24:25]
	s_add_nc_u64 s[4:5], s[12:13], s[14:15]
	v_cmp_gt_i64_e32 vcc_lo, s[22:23], v[0:1]
	s_wait_kmcnt 0x0
	s_mov_b32 s7, s6
	s_mov_b32 s9, s8
	s_delay_alu instid0(VALU_DEP_3) | instskip(NEXT) | instid1(VALU_DEP_3)
	v_lshl_add_u64 v[0:1], v[2:3], 3, s[0:1]
	v_lshl_add_u64 v[2:3], v[4:5], 3, s[4:5]
	s_branch .LBB9_3
.LBB9_2:                                ;   in Loop: Header=BB9_3 Depth=1
	s_wait_xcnt 0x0
	s_or_b32 exec_lo, exec_lo, s0
	s_add_co_i32 s2, s2, 0x10000
	s_delay_alu instid0(SALU_CYCLE_1)
	s_cmp_lt_u32 s2, s20
	s_cbranch_scc0 .LBB9_5
.LBB9_3:                                ; =>This Inner Loop Header: Depth=1
	s_and_saveexec_b32 s0, vcc_lo
	s_cbranch_execz .LBB9_2
; %bb.4:                                ;   in Loop: Header=BB9_3 Depth=1
	s_mul_u64 s[4:5], s[10:11], s[2:3]
	s_mul_u64 s[12:13], s[18:19], s[2:3]
	v_lshl_add_u64 v[4:5], s[4:5], 3, v[0:1]
	v_lshl_add_u64 v[6:7], s[12:13], 3, v[2:3]
	v_mov_b64_e32 v[12:13], s[8:9]
	v_mov_b64_e32 v[14:15], s[6:7]
	global_load_b64 v[8:9], v[4:5], off
	global_load_b64 v[10:11], v[6:7], off
	s_wait_loadcnt 0x1
	v_pk_mul_f32 v[16:17], v[12:13], v[8:9]
	s_wait_loadcnt 0x0
	v_pk_mul_f32 v[12:13], v[12:13], v[10:11]
	s_delay_alu instid0(VALU_DEP_2) | instskip(NEXT) | instid1(VALU_DEP_2)
	v_pk_fma_f32 v[10:11], v[14:15], v[10:11], v[16:17] neg_lo:[0,0,1] neg_hi:[0,0,1]
	v_pk_fma_f32 v[8:9], v[14:15], v[8:9], v[12:13]
	global_store_b64 v[6:7], v[10:11], off
	global_store_b64 v[4:5], v[8:9], off
	s_branch .LBB9_2
.LBB9_5:
	s_endpgm
	.section	.rodata,"a",@progbits
	.p2align	6, 0x0
	.amdhsa_kernel _ZL18rocblas_rot_kernelIiLi512E19rocblas_complex_numIfEPS1_S2_ffEviT2_lllT3_lllT4_lT5_li
		.amdhsa_group_segment_fixed_size 0
		.amdhsa_private_segment_fixed_size 0
		.amdhsa_kernarg_size 368
		.amdhsa_user_sgpr_count 2
		.amdhsa_user_sgpr_dispatch_ptr 0
		.amdhsa_user_sgpr_queue_ptr 0
		.amdhsa_user_sgpr_kernarg_segment_ptr 1
		.amdhsa_user_sgpr_dispatch_id 0
		.amdhsa_user_sgpr_kernarg_preload_length 0
		.amdhsa_user_sgpr_kernarg_preload_offset 0
		.amdhsa_user_sgpr_private_segment_size 0
		.amdhsa_wavefront_size32 1
		.amdhsa_uses_dynamic_stack 0
		.amdhsa_enable_private_segment 0
		.amdhsa_system_sgpr_workgroup_id_x 1
		.amdhsa_system_sgpr_workgroup_id_y 0
		.amdhsa_system_sgpr_workgroup_id_z 1
		.amdhsa_system_sgpr_workgroup_info 0
		.amdhsa_system_vgpr_workitem_id 0
		.amdhsa_next_free_vgpr 18
		.amdhsa_next_free_sgpr 28
		.amdhsa_named_barrier_count 0
		.amdhsa_reserve_vcc 1
		.amdhsa_float_round_mode_32 0
		.amdhsa_float_round_mode_16_64 0
		.amdhsa_float_denorm_mode_32 3
		.amdhsa_float_denorm_mode_16_64 3
		.amdhsa_fp16_overflow 0
		.amdhsa_memory_ordered 1
		.amdhsa_forward_progress 1
		.amdhsa_inst_pref_size 4
		.amdhsa_round_robin_scheduling 0
		.amdhsa_exception_fp_ieee_invalid_op 0
		.amdhsa_exception_fp_denorm_src 0
		.amdhsa_exception_fp_ieee_div_zero 0
		.amdhsa_exception_fp_ieee_overflow 0
		.amdhsa_exception_fp_ieee_underflow 0
		.amdhsa_exception_fp_ieee_inexact 0
		.amdhsa_exception_int_div_zero 0
	.end_amdhsa_kernel
	.section	.text._ZL18rocblas_rot_kernelIiLi512E19rocblas_complex_numIfEPS1_S2_ffEviT2_lllT3_lllT4_lT5_li,"axG",@progbits,_ZL18rocblas_rot_kernelIiLi512E19rocblas_complex_numIfEPS1_S2_ffEviT2_lllT3_lllT4_lT5_li,comdat
.Lfunc_end9:
	.size	_ZL18rocblas_rot_kernelIiLi512E19rocblas_complex_numIfEPS1_S2_ffEviT2_lllT3_lllT4_lT5_li, .Lfunc_end9-_ZL18rocblas_rot_kernelIiLi512E19rocblas_complex_numIfEPS1_S2_ffEviT2_lllT3_lllT4_lT5_li
                                        ; -- End function
	.set _ZL18rocblas_rot_kernelIiLi512E19rocblas_complex_numIfEPS1_S2_ffEviT2_lllT3_lllT4_lT5_li.num_vgpr, 18
	.set _ZL18rocblas_rot_kernelIiLi512E19rocblas_complex_numIfEPS1_S2_ffEviT2_lllT3_lllT4_lT5_li.num_agpr, 0
	.set _ZL18rocblas_rot_kernelIiLi512E19rocblas_complex_numIfEPS1_S2_ffEviT2_lllT3_lllT4_lT5_li.numbered_sgpr, 28
	.set _ZL18rocblas_rot_kernelIiLi512E19rocblas_complex_numIfEPS1_S2_ffEviT2_lllT3_lllT4_lT5_li.num_named_barrier, 0
	.set _ZL18rocblas_rot_kernelIiLi512E19rocblas_complex_numIfEPS1_S2_ffEviT2_lllT3_lllT4_lT5_li.private_seg_size, 0
	.set _ZL18rocblas_rot_kernelIiLi512E19rocblas_complex_numIfEPS1_S2_ffEviT2_lllT3_lllT4_lT5_li.uses_vcc, 1
	.set _ZL18rocblas_rot_kernelIiLi512E19rocblas_complex_numIfEPS1_S2_ffEviT2_lllT3_lllT4_lT5_li.uses_flat_scratch, 0
	.set _ZL18rocblas_rot_kernelIiLi512E19rocblas_complex_numIfEPS1_S2_ffEviT2_lllT3_lllT4_lT5_li.has_dyn_sized_stack, 0
	.set _ZL18rocblas_rot_kernelIiLi512E19rocblas_complex_numIfEPS1_S2_ffEviT2_lllT3_lllT4_lT5_li.has_recursion, 0
	.set _ZL18rocblas_rot_kernelIiLi512E19rocblas_complex_numIfEPS1_S2_ffEviT2_lllT3_lllT4_lT5_li.has_indirect_call, 0
	.section	.AMDGPU.csdata,"",@progbits
; Kernel info:
; codeLenInByte = 420
; TotalNumSgprs: 30
; NumVgprs: 18
; ScratchSize: 0
; MemoryBound: 0
; FloatMode: 240
; IeeeMode: 1
; LDSByteSize: 0 bytes/workgroup (compile time only)
; SGPRBlocks: 0
; VGPRBlocks: 1
; NumSGPRsForWavesPerEU: 30
; NumVGPRsForWavesPerEU: 18
; NamedBarCnt: 0
; Occupancy: 16
; WaveLimiterHint : 0
; COMPUTE_PGM_RSRC2:SCRATCH_EN: 0
; COMPUTE_PGM_RSRC2:USER_SGPR: 2
; COMPUTE_PGM_RSRC2:TRAP_HANDLER: 0
; COMPUTE_PGM_RSRC2:TGID_X_EN: 1
; COMPUTE_PGM_RSRC2:TGID_Y_EN: 0
; COMPUTE_PGM_RSRC2:TGID_Z_EN: 1
; COMPUTE_PGM_RSRC2:TIDIG_COMP_CNT: 0
	.section	.text._ZL18rocblas_rot_kernelIiLi512E19rocblas_complex_numIfEPS1_S2_PKfPKS1_EviT2_lllT3_lllT4_lT5_li,"axG",@progbits,_ZL18rocblas_rot_kernelIiLi512E19rocblas_complex_numIfEPS1_S2_PKfPKS1_EviT2_lllT3_lllT4_lT5_li,comdat
	.globl	_ZL18rocblas_rot_kernelIiLi512E19rocblas_complex_numIfEPS1_S2_PKfPKS1_EviT2_lllT3_lllT4_lT5_li ; -- Begin function _ZL18rocblas_rot_kernelIiLi512E19rocblas_complex_numIfEPS1_S2_PKfPKS1_EviT2_lllT3_lllT4_lT5_li
	.p2align	8
	.type	_ZL18rocblas_rot_kernelIiLi512E19rocblas_complex_numIfEPS1_S2_PKfPKS1_EviT2_lllT3_lllT4_lT5_li,@function
_ZL18rocblas_rot_kernelIiLi512E19rocblas_complex_numIfEPS1_S2_PKfPKS1_EviT2_lllT3_lllT4_lT5_li: ; @_ZL18rocblas_rot_kernelIiLi512E19rocblas_complex_numIfEPS1_S2_PKfPKS1_EviT2_lllT3_lllT4_lT5_li
; %bb.0:
	s_load_b32 s28, s[0:1], 0x68
	s_bfe_u32 s2, ttmp6, 0x40014
	s_lshr_b32 s3, ttmp7, 16
	s_add_co_i32 s2, s2, 1
	s_bfe_u32 s4, ttmp6, 0x40008
	s_mul_i32 s2, s3, s2
	s_getreg_b32 s20, hwreg(HW_REG_IB_STS2, 6, 4)
	s_add_co_i32 s4, s4, s2
	s_cmp_eq_u32 s20, 0
	s_cselect_b32 s2, s3, s4
	s_mov_b32 s3, 0
	s_wait_kmcnt 0x0
	s_cmp_ge_u32 s2, s28
	s_cbranch_scc1 .LBB10_5
; %bb.1:
	s_clause 0x2
	s_load_b32 s30, s[0:1], 0x0
	s_load_b512 s[4:19], s[0:1], 0x8
	s_load_b32 s21, s[0:1], 0x7c
	s_bfe_u32 s22, ttmp6, 0x4000c
	s_and_b32 s23, ttmp6, 15
	s_add_co_i32 s22, s22, 1
	v_mov_b32_e32 v1, 0
	s_mul_i32 s22, ttmp9, s22
	s_delay_alu instid0(SALU_CYCLE_1)
	s_add_co_i32 s23, s23, s22
	s_wait_kmcnt 0x0
	s_ashr_i32 s31, s30, 31
	s_lshl_b64 s[6:7], s[6:7], 3
	s_lshl_b64 s[14:15], s[14:15], 3
	s_and_b32 s21, s21, 0xffff
	s_cmp_eq_u32 s20, 0
	s_cselect_b32 s20, ttmp9, s23
	s_delay_alu instid0(SALU_CYCLE_1) | instskip(SKIP_4) | instid1(VALU_DEP_1)
	v_mad_u32 v0, s20, s21, v0
	s_load_b256 s[20:27], s[0:1], 0x48
	s_wait_xcnt 0x0
	s_add_nc_u64 s[0:1], s[4:5], s[6:7]
	s_add_nc_u64 s[4:5], s[12:13], s[14:15]
	v_mul_u64_e32 v[2:3], s[8:9], v[0:1]
	v_mul_u64_e32 v[4:5], s[16:17], v[0:1]
	v_cmp_gt_i64_e32 vcc_lo, s[30:31], v[0:1]
	s_delay_alu instid0(VALU_DEP_3) | instskip(NEXT) | instid1(VALU_DEP_3)
	v_lshl_add_u64 v[2:3], v[2:3], 3, s[0:1]
	v_lshl_add_u64 v[4:5], v[4:5], 3, s[4:5]
	s_branch .LBB10_3
.LBB10_2:                               ;   in Loop: Header=BB10_3 Depth=1
	s_wait_xcnt 0x0
	s_or_b32 exec_lo, exec_lo, s0
	s_add_co_i32 s2, s2, 0x10000
	s_delay_alu instid0(SALU_CYCLE_1)
	s_cmp_lt_u32 s2, s28
	s_cbranch_scc0 .LBB10_5
.LBB10_3:                               ; =>This Inner Loop Header: Depth=1
	s_and_saveexec_b32 s0, vcc_lo
	s_cbranch_execz .LBB10_2
; %bb.4:                                ;   in Loop: Header=BB10_3 Depth=1
	s_mul_u64 s[6:7], s[10:11], s[2:3]
	s_mul_u64 s[4:5], s[18:19], s[2:3]
	s_wait_kmcnt 0x0
	s_mul_u64 s[8:9], s[26:27], s[2:3]
	v_lshl_add_u64 v[6:7], s[6:7], 3, v[2:3]
	s_lshl_b64 s[6:7], s[8:9], 3
	v_lshl_add_u64 v[8:9], s[4:5], 3, v[4:5]
	s_add_nc_u64 s[4:5], s[24:25], s[6:7]
	global_load_b64 v[10:11], v[6:7], off
	global_load_b64 v[12:13], v1, s[4:5]
	global_load_b64 v[14:15], v[8:9], off
	s_wait_xcnt 0x1
	s_mul_u64 s[4:5], s[22:23], s[2:3]
	s_delay_alu instid0(SALU_CYCLE_1) | instskip(NEXT) | instid1(SALU_CYCLE_1)
	s_lshl_b64 s[4:5], s[4:5], 2
	s_add_nc_u64 s[4:5], s[20:21], s[4:5]
	global_load_b32 v0, v1, s[4:5]
	s_wait_loadcnt 0x2
	v_pk_mul_f32 v[16:17], v[12:13], v[10:11] op_sel:[1,1] op_sel_hi:[1,0]
	s_wait_loadcnt 0x1
	v_pk_mul_f32 v[18:19], v[12:13], v[14:15] op_sel:[1,1] op_sel_hi:[0,1]
	s_delay_alu instid0(VALU_DEP_2) | instskip(NEXT) | instid1(VALU_DEP_2)
	v_pk_fma_f32 v[20:21], v[12:13], v[10:11], v[16:17] op_sel_hi:[0,1,1] neg_lo:[0,0,1] neg_hi:[0,0,1]
	v_pk_fma_f32 v[22:23], v[12:13], v[14:15], v[18:19] op_sel_hi:[1,0,1]
	v_pk_fma_f32 v[18:19], v[12:13], v[14:15], v[18:19] neg_lo:[0,0,1] neg_hi:[0,0,1]
	v_pk_fma_f32 v[12:13], v[12:13], v[10:11], v[16:17]
	s_delay_alu instid0(VALU_DEP_3) | instskip(SKIP_1) | instid1(VALU_DEP_1)
	v_dual_mov_b32 v13, v21 :: v_dual_mov_b32 v19, v23
	s_wait_loadcnt 0x0
	v_pk_fma_f32 v[12:13], v[0:1], v[14:15], v[12:13] op_sel_hi:[0,1,1] neg_lo:[0,0,1] neg_hi:[0,0,1]
	s_delay_alu instid0(VALU_DEP_2)
	v_pk_fma_f32 v[10:11], v[0:1], v[10:11], v[18:19] op_sel_hi:[0,1,1]
	global_store_b64 v[8:9], v[12:13], off
	global_store_b64 v[6:7], v[10:11], off
	s_branch .LBB10_2
.LBB10_5:
	s_endpgm
	.section	.rodata,"a",@progbits
	.p2align	6, 0x0
	.amdhsa_kernel _ZL18rocblas_rot_kernelIiLi512E19rocblas_complex_numIfEPS1_S2_PKfPKS1_EviT2_lllT3_lllT4_lT5_li
		.amdhsa_group_segment_fixed_size 0
		.amdhsa_private_segment_fixed_size 0
		.amdhsa_kernarg_size 368
		.amdhsa_user_sgpr_count 2
		.amdhsa_user_sgpr_dispatch_ptr 0
		.amdhsa_user_sgpr_queue_ptr 0
		.amdhsa_user_sgpr_kernarg_segment_ptr 1
		.amdhsa_user_sgpr_dispatch_id 0
		.amdhsa_user_sgpr_kernarg_preload_length 0
		.amdhsa_user_sgpr_kernarg_preload_offset 0
		.amdhsa_user_sgpr_private_segment_size 0
		.amdhsa_wavefront_size32 1
		.amdhsa_uses_dynamic_stack 0
		.amdhsa_enable_private_segment 0
		.amdhsa_system_sgpr_workgroup_id_x 1
		.amdhsa_system_sgpr_workgroup_id_y 0
		.amdhsa_system_sgpr_workgroup_id_z 1
		.amdhsa_system_sgpr_workgroup_info 0
		.amdhsa_system_vgpr_workitem_id 0
		.amdhsa_next_free_vgpr 24
		.amdhsa_next_free_sgpr 32
		.amdhsa_named_barrier_count 0
		.amdhsa_reserve_vcc 1
		.amdhsa_float_round_mode_32 0
		.amdhsa_float_round_mode_16_64 0
		.amdhsa_float_denorm_mode_32 3
		.amdhsa_float_denorm_mode_16_64 3
		.amdhsa_fp16_overflow 0
		.amdhsa_memory_ordered 1
		.amdhsa_forward_progress 1
		.amdhsa_inst_pref_size 4
		.amdhsa_round_robin_scheduling 0
		.amdhsa_exception_fp_ieee_invalid_op 0
		.amdhsa_exception_fp_denorm_src 0
		.amdhsa_exception_fp_ieee_div_zero 0
		.amdhsa_exception_fp_ieee_overflow 0
		.amdhsa_exception_fp_ieee_underflow 0
		.amdhsa_exception_fp_ieee_inexact 0
		.amdhsa_exception_int_div_zero 0
	.end_amdhsa_kernel
	.section	.text._ZL18rocblas_rot_kernelIiLi512E19rocblas_complex_numIfEPS1_S2_PKfPKS1_EviT2_lllT3_lllT4_lT5_li,"axG",@progbits,_ZL18rocblas_rot_kernelIiLi512E19rocblas_complex_numIfEPS1_S2_PKfPKS1_EviT2_lllT3_lllT4_lT5_li,comdat
.Lfunc_end10:
	.size	_ZL18rocblas_rot_kernelIiLi512E19rocblas_complex_numIfEPS1_S2_PKfPKS1_EviT2_lllT3_lllT4_lT5_li, .Lfunc_end10-_ZL18rocblas_rot_kernelIiLi512E19rocblas_complex_numIfEPS1_S2_PKfPKS1_EviT2_lllT3_lllT4_lT5_li
                                        ; -- End function
	.set _ZL18rocblas_rot_kernelIiLi512E19rocblas_complex_numIfEPS1_S2_PKfPKS1_EviT2_lllT3_lllT4_lT5_li.num_vgpr, 24
	.set _ZL18rocblas_rot_kernelIiLi512E19rocblas_complex_numIfEPS1_S2_PKfPKS1_EviT2_lllT3_lllT4_lT5_li.num_agpr, 0
	.set _ZL18rocblas_rot_kernelIiLi512E19rocblas_complex_numIfEPS1_S2_PKfPKS1_EviT2_lllT3_lllT4_lT5_li.numbered_sgpr, 32
	.set _ZL18rocblas_rot_kernelIiLi512E19rocblas_complex_numIfEPS1_S2_PKfPKS1_EviT2_lllT3_lllT4_lT5_li.num_named_barrier, 0
	.set _ZL18rocblas_rot_kernelIiLi512E19rocblas_complex_numIfEPS1_S2_PKfPKS1_EviT2_lllT3_lllT4_lT5_li.private_seg_size, 0
	.set _ZL18rocblas_rot_kernelIiLi512E19rocblas_complex_numIfEPS1_S2_PKfPKS1_EviT2_lllT3_lllT4_lT5_li.uses_vcc, 1
	.set _ZL18rocblas_rot_kernelIiLi512E19rocblas_complex_numIfEPS1_S2_PKfPKS1_EviT2_lllT3_lllT4_lT5_li.uses_flat_scratch, 0
	.set _ZL18rocblas_rot_kernelIiLi512E19rocblas_complex_numIfEPS1_S2_PKfPKS1_EviT2_lllT3_lllT4_lT5_li.has_dyn_sized_stack, 0
	.set _ZL18rocblas_rot_kernelIiLi512E19rocblas_complex_numIfEPS1_S2_PKfPKS1_EviT2_lllT3_lllT4_lT5_li.has_recursion, 0
	.set _ZL18rocblas_rot_kernelIiLi512E19rocblas_complex_numIfEPS1_S2_PKfPKS1_EviT2_lllT3_lllT4_lT5_li.has_indirect_call, 0
	.section	.AMDGPU.csdata,"",@progbits
; Kernel info:
; codeLenInByte = 504
; TotalNumSgprs: 34
; NumVgprs: 24
; ScratchSize: 0
; MemoryBound: 0
; FloatMode: 240
; IeeeMode: 1
; LDSByteSize: 0 bytes/workgroup (compile time only)
; SGPRBlocks: 0
; VGPRBlocks: 1
; NumSGPRsForWavesPerEU: 34
; NumVGPRsForWavesPerEU: 24
; NamedBarCnt: 0
; Occupancy: 16
; WaveLimiterHint : 0
; COMPUTE_PGM_RSRC2:SCRATCH_EN: 0
; COMPUTE_PGM_RSRC2:USER_SGPR: 2
; COMPUTE_PGM_RSRC2:TRAP_HANDLER: 0
; COMPUTE_PGM_RSRC2:TGID_X_EN: 1
; COMPUTE_PGM_RSRC2:TGID_Y_EN: 0
; COMPUTE_PGM_RSRC2:TGID_Z_EN: 1
; COMPUTE_PGM_RSRC2:TIDIG_COMP_CNT: 0
	.section	.text._ZL18rocblas_rot_kernelIiLi512E19rocblas_complex_numIfEPS1_S2_fS1_EviT2_lllT3_lllT4_lT5_li,"axG",@progbits,_ZL18rocblas_rot_kernelIiLi512E19rocblas_complex_numIfEPS1_S2_fS1_EviT2_lllT3_lllT4_lT5_li,comdat
	.globl	_ZL18rocblas_rot_kernelIiLi512E19rocblas_complex_numIfEPS1_S2_fS1_EviT2_lllT3_lllT4_lT5_li ; -- Begin function _ZL18rocblas_rot_kernelIiLi512E19rocblas_complex_numIfEPS1_S2_fS1_EviT2_lllT3_lllT4_lT5_li
	.p2align	8
	.type	_ZL18rocblas_rot_kernelIiLi512E19rocblas_complex_numIfEPS1_S2_fS1_EviT2_lllT3_lllT4_lT5_li,@function
_ZL18rocblas_rot_kernelIiLi512E19rocblas_complex_numIfEPS1_S2_fS1_EviT2_lllT3_lllT4_lT5_li: ; @_ZL18rocblas_rot_kernelIiLi512E19rocblas_complex_numIfEPS1_S2_fS1_EviT2_lllT3_lllT4_lT5_li
; %bb.0:
	s_load_b32 s20, s[0:1], 0x68
	s_bfe_u32 s2, ttmp6, 0x40014
	s_lshr_b32 s3, ttmp7, 16
	s_add_co_i32 s2, s2, 1
	s_bfe_u32 s4, ttmp6, 0x40008
	s_mul_i32 s2, s3, s2
	s_getreg_b32 s21, hwreg(HW_REG_IB_STS2, 6, 4)
	s_add_co_i32 s4, s4, s2
	s_cmp_eq_u32 s21, 0
	s_cselect_b32 s2, s3, s4
	s_mov_b32 s3, 0
	s_wait_kmcnt 0x0
	s_cmp_ge_u32 s2, s20
	s_cbranch_scc1 .LBB11_5
; %bb.1:
	s_clause 0x2
	s_load_b32 s22, s[0:1], 0x0
	s_load_b512 s[4:19], s[0:1], 0x8
	s_load_b32 s26, s[0:1], 0x7c
	s_bfe_u32 s23, ttmp6, 0x4000c
	s_and_b32 s24, ttmp6, 15
	s_add_co_i32 s23, s23, 1
	v_mov_b32_e32 v1, 0
	s_mul_i32 s23, ttmp9, s23
	s_delay_alu instid0(SALU_CYCLE_1)
	s_add_co_i32 s27, s24, s23
	s_wait_kmcnt 0x0
	s_ashr_i32 s23, s22, 31
	s_lshl_b64 s[24:25], s[6:7], 3
	s_lshl_b64 s[14:15], s[14:15], 3
	s_and_b32 s6, s26, 0xffff
	s_cmp_eq_u32 s21, 0
	s_add_nc_u64 s[4:5], s[4:5], s[24:25]
	s_cselect_b32 s7, ttmp9, s27
	s_add_nc_u64 s[12:13], s[12:13], s[14:15]
	v_mad_u32 v0, s7, s6, v0
	s_delay_alu instid0(VALU_DEP_1)
	v_mul_u64_e32 v[2:3], s[8:9], v[0:1]
	v_mul_u64_e32 v[4:5], s[16:17], v[0:1]
	s_clause 0x1
	s_load_b32 s6, s[0:1], 0x48
	s_load_b64 s[8:9], s[0:1], 0x58
	v_cmp_gt_i64_e32 vcc_lo, s[22:23], v[0:1]
	s_wait_kmcnt 0x0
	s_mov_b32 s7, s6
	s_mov_b32 s0, s8
	;; [unrolled: 1-line block ×3, first 2 shown]
	s_delay_alu instid0(VALU_DEP_3) | instskip(NEXT) | instid1(VALU_DEP_3)
	v_lshl_add_u64 v[0:1], v[2:3], 3, s[4:5]
	v_lshl_add_u64 v[2:3], v[4:5], 3, s[12:13]
	s_mov_b32 s4, s9
	s_mov_b32 s5, s9
	;; [unrolled: 1-line block ×4, first 2 shown]
	s_branch .LBB11_3
.LBB11_2:                               ;   in Loop: Header=BB11_3 Depth=1
	s_wait_xcnt 0x0
	s_or_b32 exec_lo, exec_lo, s14
	s_add_co_i32 s2, s2, 0x10000
	s_delay_alu instid0(SALU_CYCLE_1)
	s_cmp_lt_u32 s2, s20
	s_cbranch_scc0 .LBB11_5
.LBB11_3:                               ; =>This Inner Loop Header: Depth=1
	s_and_saveexec_b32 s14, vcc_lo
	s_cbranch_execz .LBB11_2
; %bb.4:                                ;   in Loop: Header=BB11_3 Depth=1
	s_mul_u64 s[16:17], s[10:11], s[2:3]
	s_mul_u64 s[22:23], s[18:19], s[2:3]
	v_lshl_add_u64 v[4:5], s[16:17], 3, v[0:1]
	v_lshl_add_u64 v[6:7], s[22:23], 3, v[2:3]
	v_mov_b64_e32 v[12:13], s[4:5]
	v_mov_b64_e32 v[14:15], s[12:13]
	v_mov_b64_e32 v[16:17], s[0:1]
	global_load_b64 v[8:9], v[4:5], off
	global_load_b64 v[10:11], v[6:7], off
	v_mov_b64_e32 v[18:19], s[8:9]
	v_mov_b64_e32 v[24:25], s[6:7]
	s_wait_loadcnt 0x1
	v_pk_mul_f32 v[12:13], v[12:13], v[8:9] op_sel:[0,1] op_sel_hi:[1,0]
	s_wait_loadcnt 0x0
	v_pk_mul_f32 v[14:15], v[14:15], v[10:11] op_sel:[0,1]
	s_delay_alu instid0(VALU_DEP_2) | instskip(NEXT) | instid1(VALU_DEP_2)
	v_pk_fma_f32 v[20:21], v[16:17], v[8:9], v[12:13] neg_lo:[0,0,1] neg_hi:[0,0,1]
	v_pk_fma_f32 v[22:23], v[18:19], v[10:11], v[14:15] op_sel_hi:[1,0,1]
	v_pk_fma_f32 v[12:13], v[16:17], v[8:9], v[12:13]
	v_pk_fma_f32 v[14:15], v[18:19], v[10:11], v[14:15] neg_lo:[0,0,1] neg_hi:[0,0,1]
	s_delay_alu instid0(VALU_DEP_3) | instskip(NEXT) | instid1(VALU_DEP_1)
	v_dual_mov_b32 v13, v21 :: v_dual_mov_b32 v15, v23
	v_pk_fma_f32 v[10:11], v[24:25], v[10:11], v[12:13] neg_lo:[0,0,1] neg_hi:[0,0,1]
	s_delay_alu instid0(VALU_DEP_2)
	v_pk_fma_f32 v[8:9], v[24:25], v[8:9], v[14:15]
	global_store_b64 v[6:7], v[10:11], off
	global_store_b64 v[4:5], v[8:9], off
	s_branch .LBB11_2
.LBB11_5:
	s_endpgm
	.section	.rodata,"a",@progbits
	.p2align	6, 0x0
	.amdhsa_kernel _ZL18rocblas_rot_kernelIiLi512E19rocblas_complex_numIfEPS1_S2_fS1_EviT2_lllT3_lllT4_lT5_li
		.amdhsa_group_segment_fixed_size 0
		.amdhsa_private_segment_fixed_size 0
		.amdhsa_kernarg_size 368
		.amdhsa_user_sgpr_count 2
		.amdhsa_user_sgpr_dispatch_ptr 0
		.amdhsa_user_sgpr_queue_ptr 0
		.amdhsa_user_sgpr_kernarg_segment_ptr 1
		.amdhsa_user_sgpr_dispatch_id 0
		.amdhsa_user_sgpr_kernarg_preload_length 0
		.amdhsa_user_sgpr_kernarg_preload_offset 0
		.amdhsa_user_sgpr_private_segment_size 0
		.amdhsa_wavefront_size32 1
		.amdhsa_uses_dynamic_stack 0
		.amdhsa_enable_private_segment 0
		.amdhsa_system_sgpr_workgroup_id_x 1
		.amdhsa_system_sgpr_workgroup_id_y 0
		.amdhsa_system_sgpr_workgroup_id_z 1
		.amdhsa_system_sgpr_workgroup_info 0
		.amdhsa_system_vgpr_workitem_id 0
		.amdhsa_next_free_vgpr 26
		.amdhsa_next_free_sgpr 28
		.amdhsa_named_barrier_count 0
		.amdhsa_reserve_vcc 1
		.amdhsa_float_round_mode_32 0
		.amdhsa_float_round_mode_16_64 0
		.amdhsa_float_denorm_mode_32 3
		.amdhsa_float_denorm_mode_16_64 3
		.amdhsa_fp16_overflow 0
		.amdhsa_memory_ordered 1
		.amdhsa_forward_progress 1
		.amdhsa_inst_pref_size 4
		.amdhsa_round_robin_scheduling 0
		.amdhsa_exception_fp_ieee_invalid_op 0
		.amdhsa_exception_fp_denorm_src 0
		.amdhsa_exception_fp_ieee_div_zero 0
		.amdhsa_exception_fp_ieee_overflow 0
		.amdhsa_exception_fp_ieee_underflow 0
		.amdhsa_exception_fp_ieee_inexact 0
		.amdhsa_exception_int_div_zero 0
	.end_amdhsa_kernel
	.section	.text._ZL18rocblas_rot_kernelIiLi512E19rocblas_complex_numIfEPS1_S2_fS1_EviT2_lllT3_lllT4_lT5_li,"axG",@progbits,_ZL18rocblas_rot_kernelIiLi512E19rocblas_complex_numIfEPS1_S2_fS1_EviT2_lllT3_lllT4_lT5_li,comdat
.Lfunc_end11:
	.size	_ZL18rocblas_rot_kernelIiLi512E19rocblas_complex_numIfEPS1_S2_fS1_EviT2_lllT3_lllT4_lT5_li, .Lfunc_end11-_ZL18rocblas_rot_kernelIiLi512E19rocblas_complex_numIfEPS1_S2_fS1_EviT2_lllT3_lllT4_lT5_li
                                        ; -- End function
	.set _ZL18rocblas_rot_kernelIiLi512E19rocblas_complex_numIfEPS1_S2_fS1_EviT2_lllT3_lllT4_lT5_li.num_vgpr, 26
	.set _ZL18rocblas_rot_kernelIiLi512E19rocblas_complex_numIfEPS1_S2_fS1_EviT2_lllT3_lllT4_lT5_li.num_agpr, 0
	.set _ZL18rocblas_rot_kernelIiLi512E19rocblas_complex_numIfEPS1_S2_fS1_EviT2_lllT3_lllT4_lT5_li.numbered_sgpr, 28
	.set _ZL18rocblas_rot_kernelIiLi512E19rocblas_complex_numIfEPS1_S2_fS1_EviT2_lllT3_lllT4_lT5_li.num_named_barrier, 0
	.set _ZL18rocblas_rot_kernelIiLi512E19rocblas_complex_numIfEPS1_S2_fS1_EviT2_lllT3_lllT4_lT5_li.private_seg_size, 0
	.set _ZL18rocblas_rot_kernelIiLi512E19rocblas_complex_numIfEPS1_S2_fS1_EviT2_lllT3_lllT4_lT5_li.uses_vcc, 1
	.set _ZL18rocblas_rot_kernelIiLi512E19rocblas_complex_numIfEPS1_S2_fS1_EviT2_lllT3_lllT4_lT5_li.uses_flat_scratch, 0
	.set _ZL18rocblas_rot_kernelIiLi512E19rocblas_complex_numIfEPS1_S2_fS1_EviT2_lllT3_lllT4_lT5_li.has_dyn_sized_stack, 0
	.set _ZL18rocblas_rot_kernelIiLi512E19rocblas_complex_numIfEPS1_S2_fS1_EviT2_lllT3_lllT4_lT5_li.has_recursion, 0
	.set _ZL18rocblas_rot_kernelIiLi512E19rocblas_complex_numIfEPS1_S2_fS1_EviT2_lllT3_lllT4_lT5_li.has_indirect_call, 0
	.section	.AMDGPU.csdata,"",@progbits
; Kernel info:
; codeLenInByte = 500
; TotalNumSgprs: 30
; NumVgprs: 26
; ScratchSize: 0
; MemoryBound: 0
; FloatMode: 240
; IeeeMode: 1
; LDSByteSize: 0 bytes/workgroup (compile time only)
; SGPRBlocks: 0
; VGPRBlocks: 1
; NumSGPRsForWavesPerEU: 30
; NumVGPRsForWavesPerEU: 26
; NamedBarCnt: 0
; Occupancy: 16
; WaveLimiterHint : 0
; COMPUTE_PGM_RSRC2:SCRATCH_EN: 0
; COMPUTE_PGM_RSRC2:USER_SGPR: 2
; COMPUTE_PGM_RSRC2:TRAP_HANDLER: 0
; COMPUTE_PGM_RSRC2:TGID_X_EN: 1
; COMPUTE_PGM_RSRC2:TGID_Y_EN: 0
; COMPUTE_PGM_RSRC2:TGID_Z_EN: 1
; COMPUTE_PGM_RSRC2:TIDIG_COMP_CNT: 0
	.section	.text._ZL18rocblas_rot_kernelIiLi512E19rocblas_complex_numIfEPS1_S2_PKS1_S4_EviT2_lllT3_lllT4_lT5_li,"axG",@progbits,_ZL18rocblas_rot_kernelIiLi512E19rocblas_complex_numIfEPS1_S2_PKS1_S4_EviT2_lllT3_lllT4_lT5_li,comdat
	.globl	_ZL18rocblas_rot_kernelIiLi512E19rocblas_complex_numIfEPS1_S2_PKS1_S4_EviT2_lllT3_lllT4_lT5_li ; -- Begin function _ZL18rocblas_rot_kernelIiLi512E19rocblas_complex_numIfEPS1_S2_PKS1_S4_EviT2_lllT3_lllT4_lT5_li
	.p2align	8
	.type	_ZL18rocblas_rot_kernelIiLi512E19rocblas_complex_numIfEPS1_S2_PKS1_S4_EviT2_lllT3_lllT4_lT5_li,@function
_ZL18rocblas_rot_kernelIiLi512E19rocblas_complex_numIfEPS1_S2_PKS1_S4_EviT2_lllT3_lllT4_lT5_li: ; @_ZL18rocblas_rot_kernelIiLi512E19rocblas_complex_numIfEPS1_S2_PKS1_S4_EviT2_lllT3_lllT4_lT5_li
; %bb.0:
	s_load_b32 s28, s[0:1], 0x68
	s_bfe_u32 s2, ttmp6, 0x40014
	s_lshr_b32 s3, ttmp7, 16
	s_add_co_i32 s2, s2, 1
	s_bfe_u32 s4, ttmp6, 0x40008
	s_mul_i32 s2, s3, s2
	s_getreg_b32 s20, hwreg(HW_REG_IB_STS2, 6, 4)
	s_add_co_i32 s4, s4, s2
	s_cmp_eq_u32 s20, 0
	s_cselect_b32 s2, s3, s4
	s_mov_b32 s3, 0
	s_wait_kmcnt 0x0
	s_cmp_ge_u32 s2, s28
	s_cbranch_scc1 .LBB12_5
; %bb.1:
	s_clause 0x2
	s_load_b32 s30, s[0:1], 0x0
	s_load_b512 s[4:19], s[0:1], 0x8
	s_load_b32 s21, s[0:1], 0x7c
	s_bfe_u32 s22, ttmp6, 0x4000c
	s_and_b32 s23, ttmp6, 15
	s_add_co_i32 s22, s22, 1
	v_mov_b32_e32 v1, 0
	s_mul_i32 s22, ttmp9, s22
	s_delay_alu instid0(SALU_CYCLE_1)
	s_add_co_i32 s23, s23, s22
	s_wait_kmcnt 0x0
	s_ashr_i32 s31, s30, 31
	s_lshl_b64 s[6:7], s[6:7], 3
	s_lshl_b64 s[14:15], s[14:15], 3
	s_and_b32 s21, s21, 0xffff
	s_cmp_eq_u32 s20, 0
	s_cselect_b32 s20, ttmp9, s23
	s_delay_alu instid0(SALU_CYCLE_1) | instskip(SKIP_4) | instid1(VALU_DEP_1)
	v_mad_u32 v0, s20, s21, v0
	s_load_b256 s[20:27], s[0:1], 0x48
	s_wait_xcnt 0x0
	s_add_nc_u64 s[0:1], s[4:5], s[6:7]
	s_add_nc_u64 s[4:5], s[12:13], s[14:15]
	v_mul_u64_e32 v[2:3], s[8:9], v[0:1]
	v_mul_u64_e32 v[4:5], s[16:17], v[0:1]
	v_cmp_gt_i64_e32 vcc_lo, s[30:31], v[0:1]
	s_delay_alu instid0(VALU_DEP_3) | instskip(NEXT) | instid1(VALU_DEP_3)
	v_lshl_add_u64 v[2:3], v[2:3], 3, s[0:1]
	v_lshl_add_u64 v[4:5], v[4:5], 3, s[4:5]
	s_branch .LBB12_3
.LBB12_2:                               ;   in Loop: Header=BB12_3 Depth=1
	s_wait_xcnt 0x0
	s_or_b32 exec_lo, exec_lo, s0
	s_add_co_i32 s2, s2, 0x10000
	s_delay_alu instid0(SALU_CYCLE_1)
	s_cmp_lt_u32 s2, s28
	s_cbranch_scc0 .LBB12_5
.LBB12_3:                               ; =>This Inner Loop Header: Depth=1
	s_and_saveexec_b32 s0, vcc_lo
	s_cbranch_execz .LBB12_2
; %bb.4:                                ;   in Loop: Header=BB12_3 Depth=1
	s_mul_u64 s[6:7], s[10:11], s[2:3]
	s_mul_u64 s[4:5], s[18:19], s[2:3]
	s_wait_kmcnt 0x0
	s_mul_u64 s[8:9], s[26:27], s[2:3]
	v_lshl_add_u64 v[6:7], s[6:7], 3, v[2:3]
	s_lshl_b64 s[6:7], s[8:9], 3
	v_lshl_add_u64 v[8:9], s[4:5], 3, v[4:5]
	s_add_nc_u64 s[4:5], s[24:25], s[6:7]
	global_load_b64 v[10:11], v[6:7], off
	global_load_b64 v[12:13], v1, s[4:5]
	global_load_b64 v[14:15], v[8:9], off
	s_wait_xcnt 0x1
	s_mul_u64 s[4:5], s[22:23], s[2:3]
	s_delay_alu instid0(SALU_CYCLE_1) | instskip(NEXT) | instid1(SALU_CYCLE_1)
	s_lshl_b64 s[4:5], s[4:5], 3
	s_add_nc_u64 s[4:5], s[20:21], s[4:5]
	global_load_b32 v0, v1, s[4:5]
	s_wait_loadcnt 0x2
	v_pk_mul_f32 v[16:17], v[12:13], v[10:11] op_sel:[1,1] op_sel_hi:[1,0]
	s_wait_loadcnt 0x1
	v_pk_mul_f32 v[18:19], v[12:13], v[14:15] op_sel:[1,1] op_sel_hi:[0,1]
	s_delay_alu instid0(VALU_DEP_2) | instskip(NEXT) | instid1(VALU_DEP_2)
	v_pk_fma_f32 v[20:21], v[12:13], v[10:11], v[16:17] op_sel_hi:[0,1,1] neg_lo:[0,0,1] neg_hi:[0,0,1]
	v_pk_fma_f32 v[22:23], v[12:13], v[14:15], v[18:19] op_sel_hi:[1,0,1]
	v_pk_fma_f32 v[18:19], v[12:13], v[14:15], v[18:19] neg_lo:[0,0,1] neg_hi:[0,0,1]
	v_pk_fma_f32 v[12:13], v[12:13], v[10:11], v[16:17]
	s_delay_alu instid0(VALU_DEP_3) | instskip(SKIP_1) | instid1(VALU_DEP_1)
	v_dual_mov_b32 v13, v21 :: v_dual_mov_b32 v19, v23
	s_wait_loadcnt 0x0
	v_pk_fma_f32 v[12:13], v[0:1], v[14:15], v[12:13] op_sel_hi:[0,1,1] neg_lo:[0,0,1] neg_hi:[0,0,1]
	s_delay_alu instid0(VALU_DEP_2)
	v_pk_fma_f32 v[10:11], v[0:1], v[10:11], v[18:19] op_sel_hi:[0,1,1]
	global_store_b64 v[8:9], v[12:13], off
	global_store_b64 v[6:7], v[10:11], off
	s_branch .LBB12_2
.LBB12_5:
	s_endpgm
	.section	.rodata,"a",@progbits
	.p2align	6, 0x0
	.amdhsa_kernel _ZL18rocblas_rot_kernelIiLi512E19rocblas_complex_numIfEPS1_S2_PKS1_S4_EviT2_lllT3_lllT4_lT5_li
		.amdhsa_group_segment_fixed_size 0
		.amdhsa_private_segment_fixed_size 0
		.amdhsa_kernarg_size 368
		.amdhsa_user_sgpr_count 2
		.amdhsa_user_sgpr_dispatch_ptr 0
		.amdhsa_user_sgpr_queue_ptr 0
		.amdhsa_user_sgpr_kernarg_segment_ptr 1
		.amdhsa_user_sgpr_dispatch_id 0
		.amdhsa_user_sgpr_kernarg_preload_length 0
		.amdhsa_user_sgpr_kernarg_preload_offset 0
		.amdhsa_user_sgpr_private_segment_size 0
		.amdhsa_wavefront_size32 1
		.amdhsa_uses_dynamic_stack 0
		.amdhsa_enable_private_segment 0
		.amdhsa_system_sgpr_workgroup_id_x 1
		.amdhsa_system_sgpr_workgroup_id_y 0
		.amdhsa_system_sgpr_workgroup_id_z 1
		.amdhsa_system_sgpr_workgroup_info 0
		.amdhsa_system_vgpr_workitem_id 0
		.amdhsa_next_free_vgpr 24
		.amdhsa_next_free_sgpr 32
		.amdhsa_named_barrier_count 0
		.amdhsa_reserve_vcc 1
		.amdhsa_float_round_mode_32 0
		.amdhsa_float_round_mode_16_64 0
		.amdhsa_float_denorm_mode_32 3
		.amdhsa_float_denorm_mode_16_64 3
		.amdhsa_fp16_overflow 0
		.amdhsa_memory_ordered 1
		.amdhsa_forward_progress 1
		.amdhsa_inst_pref_size 4
		.amdhsa_round_robin_scheduling 0
		.amdhsa_exception_fp_ieee_invalid_op 0
		.amdhsa_exception_fp_denorm_src 0
		.amdhsa_exception_fp_ieee_div_zero 0
		.amdhsa_exception_fp_ieee_overflow 0
		.amdhsa_exception_fp_ieee_underflow 0
		.amdhsa_exception_fp_ieee_inexact 0
		.amdhsa_exception_int_div_zero 0
	.end_amdhsa_kernel
	.section	.text._ZL18rocblas_rot_kernelIiLi512E19rocblas_complex_numIfEPS1_S2_PKS1_S4_EviT2_lllT3_lllT4_lT5_li,"axG",@progbits,_ZL18rocblas_rot_kernelIiLi512E19rocblas_complex_numIfEPS1_S2_PKS1_S4_EviT2_lllT3_lllT4_lT5_li,comdat
.Lfunc_end12:
	.size	_ZL18rocblas_rot_kernelIiLi512E19rocblas_complex_numIfEPS1_S2_PKS1_S4_EviT2_lllT3_lllT4_lT5_li, .Lfunc_end12-_ZL18rocblas_rot_kernelIiLi512E19rocblas_complex_numIfEPS1_S2_PKS1_S4_EviT2_lllT3_lllT4_lT5_li
                                        ; -- End function
	.set _ZL18rocblas_rot_kernelIiLi512E19rocblas_complex_numIfEPS1_S2_PKS1_S4_EviT2_lllT3_lllT4_lT5_li.num_vgpr, 24
	.set _ZL18rocblas_rot_kernelIiLi512E19rocblas_complex_numIfEPS1_S2_PKS1_S4_EviT2_lllT3_lllT4_lT5_li.num_agpr, 0
	.set _ZL18rocblas_rot_kernelIiLi512E19rocblas_complex_numIfEPS1_S2_PKS1_S4_EviT2_lllT3_lllT4_lT5_li.numbered_sgpr, 32
	.set _ZL18rocblas_rot_kernelIiLi512E19rocblas_complex_numIfEPS1_S2_PKS1_S4_EviT2_lllT3_lllT4_lT5_li.num_named_barrier, 0
	.set _ZL18rocblas_rot_kernelIiLi512E19rocblas_complex_numIfEPS1_S2_PKS1_S4_EviT2_lllT3_lllT4_lT5_li.private_seg_size, 0
	.set _ZL18rocblas_rot_kernelIiLi512E19rocblas_complex_numIfEPS1_S2_PKS1_S4_EviT2_lllT3_lllT4_lT5_li.uses_vcc, 1
	.set _ZL18rocblas_rot_kernelIiLi512E19rocblas_complex_numIfEPS1_S2_PKS1_S4_EviT2_lllT3_lllT4_lT5_li.uses_flat_scratch, 0
	.set _ZL18rocblas_rot_kernelIiLi512E19rocblas_complex_numIfEPS1_S2_PKS1_S4_EviT2_lllT3_lllT4_lT5_li.has_dyn_sized_stack, 0
	.set _ZL18rocblas_rot_kernelIiLi512E19rocblas_complex_numIfEPS1_S2_PKS1_S4_EviT2_lllT3_lllT4_lT5_li.has_recursion, 0
	.set _ZL18rocblas_rot_kernelIiLi512E19rocblas_complex_numIfEPS1_S2_PKS1_S4_EviT2_lllT3_lllT4_lT5_li.has_indirect_call, 0
	.section	.AMDGPU.csdata,"",@progbits
; Kernel info:
; codeLenInByte = 504
; TotalNumSgprs: 34
; NumVgprs: 24
; ScratchSize: 0
; MemoryBound: 0
; FloatMode: 240
; IeeeMode: 1
; LDSByteSize: 0 bytes/workgroup (compile time only)
; SGPRBlocks: 0
; VGPRBlocks: 1
; NumSGPRsForWavesPerEU: 34
; NumVGPRsForWavesPerEU: 24
; NamedBarCnt: 0
; Occupancy: 16
; WaveLimiterHint : 0
; COMPUTE_PGM_RSRC2:SCRATCH_EN: 0
; COMPUTE_PGM_RSRC2:USER_SGPR: 2
; COMPUTE_PGM_RSRC2:TRAP_HANDLER: 0
; COMPUTE_PGM_RSRC2:TGID_X_EN: 1
; COMPUTE_PGM_RSRC2:TGID_Y_EN: 0
; COMPUTE_PGM_RSRC2:TGID_Z_EN: 1
; COMPUTE_PGM_RSRC2:TIDIG_COMP_CNT: 0
	.section	.text._ZL18rocblas_rot_kernelIiLi512E19rocblas_complex_numIfEPS1_S2_S1_S1_EviT2_lllT3_lllT4_lT5_li,"axG",@progbits,_ZL18rocblas_rot_kernelIiLi512E19rocblas_complex_numIfEPS1_S2_S1_S1_EviT2_lllT3_lllT4_lT5_li,comdat
	.globl	_ZL18rocblas_rot_kernelIiLi512E19rocblas_complex_numIfEPS1_S2_S1_S1_EviT2_lllT3_lllT4_lT5_li ; -- Begin function _ZL18rocblas_rot_kernelIiLi512E19rocblas_complex_numIfEPS1_S2_S1_S1_EviT2_lllT3_lllT4_lT5_li
	.p2align	8
	.type	_ZL18rocblas_rot_kernelIiLi512E19rocblas_complex_numIfEPS1_S2_S1_S1_EviT2_lllT3_lllT4_lT5_li,@function
_ZL18rocblas_rot_kernelIiLi512E19rocblas_complex_numIfEPS1_S2_S1_S1_EviT2_lllT3_lllT4_lT5_li: ; @_ZL18rocblas_rot_kernelIiLi512E19rocblas_complex_numIfEPS1_S2_S1_S1_EviT2_lllT3_lllT4_lT5_li
; %bb.0:
	s_load_b32 s20, s[0:1], 0x68
	s_bfe_u32 s2, ttmp6, 0x40014
	s_lshr_b32 s3, ttmp7, 16
	s_add_co_i32 s2, s2, 1
	s_bfe_u32 s4, ttmp6, 0x40008
	s_mul_i32 s2, s3, s2
	s_getreg_b32 s21, hwreg(HW_REG_IB_STS2, 6, 4)
	s_add_co_i32 s4, s4, s2
	s_cmp_eq_u32 s21, 0
	s_cselect_b32 s2, s3, s4
	s_mov_b32 s3, 0
	s_wait_kmcnt 0x0
	s_cmp_ge_u32 s2, s20
	s_cbranch_scc1 .LBB13_5
; %bb.1:
	s_clause 0x2
	s_load_b32 s22, s[0:1], 0x0
	s_load_b512 s[4:19], s[0:1], 0x8
	s_load_b32 s26, s[0:1], 0x7c
	s_bfe_u32 s23, ttmp6, 0x4000c
	s_and_b32 s24, ttmp6, 15
	s_add_co_i32 s23, s23, 1
	v_mov_b32_e32 v1, 0
	s_mul_i32 s23, ttmp9, s23
	s_delay_alu instid0(SALU_CYCLE_1)
	s_add_co_i32 s27, s24, s23
	s_wait_kmcnt 0x0
	s_ashr_i32 s23, s22, 31
	s_lshl_b64 s[24:25], s[6:7], 3
	s_lshl_b64 s[14:15], s[14:15], 3
	s_and_b32 s6, s26, 0xffff
	s_cmp_eq_u32 s21, 0
	s_add_nc_u64 s[4:5], s[4:5], s[24:25]
	s_cselect_b32 s7, ttmp9, s27
	s_add_nc_u64 s[12:13], s[12:13], s[14:15]
	v_mad_u32 v0, s7, s6, v0
	s_delay_alu instid0(VALU_DEP_1)
	v_mul_u64_e32 v[2:3], s[8:9], v[0:1]
	v_mul_u64_e32 v[4:5], s[16:17], v[0:1]
	s_clause 0x1
	s_load_b32 s6, s[0:1], 0x48
	s_load_b64 s[8:9], s[0:1], 0x58
	v_cmp_gt_i64_e32 vcc_lo, s[22:23], v[0:1]
	s_wait_kmcnt 0x0
	s_mov_b32 s7, s6
	s_mov_b32 s0, s8
	;; [unrolled: 1-line block ×3, first 2 shown]
	s_delay_alu instid0(VALU_DEP_3) | instskip(NEXT) | instid1(VALU_DEP_3)
	v_lshl_add_u64 v[0:1], v[2:3], 3, s[4:5]
	v_lshl_add_u64 v[2:3], v[4:5], 3, s[12:13]
	s_mov_b32 s4, s9
	s_mov_b32 s5, s9
	;; [unrolled: 1-line block ×4, first 2 shown]
	s_branch .LBB13_3
.LBB13_2:                               ;   in Loop: Header=BB13_3 Depth=1
	s_wait_xcnt 0x0
	s_or_b32 exec_lo, exec_lo, s14
	s_add_co_i32 s2, s2, 0x10000
	s_delay_alu instid0(SALU_CYCLE_1)
	s_cmp_lt_u32 s2, s20
	s_cbranch_scc0 .LBB13_5
.LBB13_3:                               ; =>This Inner Loop Header: Depth=1
	s_and_saveexec_b32 s14, vcc_lo
	s_cbranch_execz .LBB13_2
; %bb.4:                                ;   in Loop: Header=BB13_3 Depth=1
	s_mul_u64 s[16:17], s[10:11], s[2:3]
	s_mul_u64 s[22:23], s[18:19], s[2:3]
	v_lshl_add_u64 v[4:5], s[16:17], 3, v[0:1]
	v_lshl_add_u64 v[6:7], s[22:23], 3, v[2:3]
	v_mov_b64_e32 v[12:13], s[4:5]
	v_mov_b64_e32 v[14:15], s[12:13]
	;; [unrolled: 1-line block ×3, first 2 shown]
	global_load_b64 v[8:9], v[4:5], off
	global_load_b64 v[10:11], v[6:7], off
	v_mov_b64_e32 v[18:19], s[8:9]
	v_mov_b64_e32 v[24:25], s[6:7]
	s_wait_loadcnt 0x1
	v_pk_mul_f32 v[12:13], v[12:13], v[8:9] op_sel:[0,1] op_sel_hi:[1,0]
	s_wait_loadcnt 0x0
	v_pk_mul_f32 v[14:15], v[14:15], v[10:11] op_sel:[0,1]
	s_delay_alu instid0(VALU_DEP_2) | instskip(NEXT) | instid1(VALU_DEP_2)
	v_pk_fma_f32 v[20:21], v[16:17], v[8:9], v[12:13] neg_lo:[0,0,1] neg_hi:[0,0,1]
	v_pk_fma_f32 v[22:23], v[18:19], v[10:11], v[14:15] op_sel_hi:[1,0,1]
	v_pk_fma_f32 v[12:13], v[16:17], v[8:9], v[12:13]
	v_pk_fma_f32 v[14:15], v[18:19], v[10:11], v[14:15] neg_lo:[0,0,1] neg_hi:[0,0,1]
	s_delay_alu instid0(VALU_DEP_3) | instskip(NEXT) | instid1(VALU_DEP_1)
	v_dual_mov_b32 v13, v21 :: v_dual_mov_b32 v15, v23
	v_pk_fma_f32 v[10:11], v[24:25], v[10:11], v[12:13] neg_lo:[0,0,1] neg_hi:[0,0,1]
	s_delay_alu instid0(VALU_DEP_2)
	v_pk_fma_f32 v[8:9], v[24:25], v[8:9], v[14:15]
	global_store_b64 v[6:7], v[10:11], off
	global_store_b64 v[4:5], v[8:9], off
	s_branch .LBB13_2
.LBB13_5:
	s_endpgm
	.section	.rodata,"a",@progbits
	.p2align	6, 0x0
	.amdhsa_kernel _ZL18rocblas_rot_kernelIiLi512E19rocblas_complex_numIfEPS1_S2_S1_S1_EviT2_lllT3_lllT4_lT5_li
		.amdhsa_group_segment_fixed_size 0
		.amdhsa_private_segment_fixed_size 0
		.amdhsa_kernarg_size 368
		.amdhsa_user_sgpr_count 2
		.amdhsa_user_sgpr_dispatch_ptr 0
		.amdhsa_user_sgpr_queue_ptr 0
		.amdhsa_user_sgpr_kernarg_segment_ptr 1
		.amdhsa_user_sgpr_dispatch_id 0
		.amdhsa_user_sgpr_kernarg_preload_length 0
		.amdhsa_user_sgpr_kernarg_preload_offset 0
		.amdhsa_user_sgpr_private_segment_size 0
		.amdhsa_wavefront_size32 1
		.amdhsa_uses_dynamic_stack 0
		.amdhsa_enable_private_segment 0
		.amdhsa_system_sgpr_workgroup_id_x 1
		.amdhsa_system_sgpr_workgroup_id_y 0
		.amdhsa_system_sgpr_workgroup_id_z 1
		.amdhsa_system_sgpr_workgroup_info 0
		.amdhsa_system_vgpr_workitem_id 0
		.amdhsa_next_free_vgpr 26
		.amdhsa_next_free_sgpr 28
		.amdhsa_named_barrier_count 0
		.amdhsa_reserve_vcc 1
		.amdhsa_float_round_mode_32 0
		.amdhsa_float_round_mode_16_64 0
		.amdhsa_float_denorm_mode_32 3
		.amdhsa_float_denorm_mode_16_64 3
		.amdhsa_fp16_overflow 0
		.amdhsa_memory_ordered 1
		.amdhsa_forward_progress 1
		.amdhsa_inst_pref_size 4
		.amdhsa_round_robin_scheduling 0
		.amdhsa_exception_fp_ieee_invalid_op 0
		.amdhsa_exception_fp_denorm_src 0
		.amdhsa_exception_fp_ieee_div_zero 0
		.amdhsa_exception_fp_ieee_overflow 0
		.amdhsa_exception_fp_ieee_underflow 0
		.amdhsa_exception_fp_ieee_inexact 0
		.amdhsa_exception_int_div_zero 0
	.end_amdhsa_kernel
	.section	.text._ZL18rocblas_rot_kernelIiLi512E19rocblas_complex_numIfEPS1_S2_S1_S1_EviT2_lllT3_lllT4_lT5_li,"axG",@progbits,_ZL18rocblas_rot_kernelIiLi512E19rocblas_complex_numIfEPS1_S2_S1_S1_EviT2_lllT3_lllT4_lT5_li,comdat
.Lfunc_end13:
	.size	_ZL18rocblas_rot_kernelIiLi512E19rocblas_complex_numIfEPS1_S2_S1_S1_EviT2_lllT3_lllT4_lT5_li, .Lfunc_end13-_ZL18rocblas_rot_kernelIiLi512E19rocblas_complex_numIfEPS1_S2_S1_S1_EviT2_lllT3_lllT4_lT5_li
                                        ; -- End function
	.set _ZL18rocblas_rot_kernelIiLi512E19rocblas_complex_numIfEPS1_S2_S1_S1_EviT2_lllT3_lllT4_lT5_li.num_vgpr, 26
	.set _ZL18rocblas_rot_kernelIiLi512E19rocblas_complex_numIfEPS1_S2_S1_S1_EviT2_lllT3_lllT4_lT5_li.num_agpr, 0
	.set _ZL18rocblas_rot_kernelIiLi512E19rocblas_complex_numIfEPS1_S2_S1_S1_EviT2_lllT3_lllT4_lT5_li.numbered_sgpr, 28
	.set _ZL18rocblas_rot_kernelIiLi512E19rocblas_complex_numIfEPS1_S2_S1_S1_EviT2_lllT3_lllT4_lT5_li.num_named_barrier, 0
	.set _ZL18rocblas_rot_kernelIiLi512E19rocblas_complex_numIfEPS1_S2_S1_S1_EviT2_lllT3_lllT4_lT5_li.private_seg_size, 0
	.set _ZL18rocblas_rot_kernelIiLi512E19rocblas_complex_numIfEPS1_S2_S1_S1_EviT2_lllT3_lllT4_lT5_li.uses_vcc, 1
	.set _ZL18rocblas_rot_kernelIiLi512E19rocblas_complex_numIfEPS1_S2_S1_S1_EviT2_lllT3_lllT4_lT5_li.uses_flat_scratch, 0
	.set _ZL18rocblas_rot_kernelIiLi512E19rocblas_complex_numIfEPS1_S2_S1_S1_EviT2_lllT3_lllT4_lT5_li.has_dyn_sized_stack, 0
	.set _ZL18rocblas_rot_kernelIiLi512E19rocblas_complex_numIfEPS1_S2_S1_S1_EviT2_lllT3_lllT4_lT5_li.has_recursion, 0
	.set _ZL18rocblas_rot_kernelIiLi512E19rocblas_complex_numIfEPS1_S2_S1_S1_EviT2_lllT3_lllT4_lT5_li.has_indirect_call, 0
	.section	.AMDGPU.csdata,"",@progbits
; Kernel info:
; codeLenInByte = 500
; TotalNumSgprs: 30
; NumVgprs: 26
; ScratchSize: 0
; MemoryBound: 0
; FloatMode: 240
; IeeeMode: 1
; LDSByteSize: 0 bytes/workgroup (compile time only)
; SGPRBlocks: 0
; VGPRBlocks: 1
; NumSGPRsForWavesPerEU: 30
; NumVGPRsForWavesPerEU: 26
; NamedBarCnt: 0
; Occupancy: 16
; WaveLimiterHint : 1
; COMPUTE_PGM_RSRC2:SCRATCH_EN: 0
; COMPUTE_PGM_RSRC2:USER_SGPR: 2
; COMPUTE_PGM_RSRC2:TRAP_HANDLER: 0
; COMPUTE_PGM_RSRC2:TGID_X_EN: 1
; COMPUTE_PGM_RSRC2:TGID_Y_EN: 0
; COMPUTE_PGM_RSRC2:TGID_Z_EN: 1
; COMPUTE_PGM_RSRC2:TIDIG_COMP_CNT: 0
	.section	.text._ZL18rocblas_rot_kernelIiLi512E19rocblas_complex_numIdEPS1_S2_PKdS4_EviT2_lllT3_lllT4_lT5_li,"axG",@progbits,_ZL18rocblas_rot_kernelIiLi512E19rocblas_complex_numIdEPS1_S2_PKdS4_EviT2_lllT3_lllT4_lT5_li,comdat
	.globl	_ZL18rocblas_rot_kernelIiLi512E19rocblas_complex_numIdEPS1_S2_PKdS4_EviT2_lllT3_lllT4_lT5_li ; -- Begin function _ZL18rocblas_rot_kernelIiLi512E19rocblas_complex_numIdEPS1_S2_PKdS4_EviT2_lllT3_lllT4_lT5_li
	.p2align	8
	.type	_ZL18rocblas_rot_kernelIiLi512E19rocblas_complex_numIdEPS1_S2_PKdS4_EviT2_lllT3_lllT4_lT5_li,@function
_ZL18rocblas_rot_kernelIiLi512E19rocblas_complex_numIdEPS1_S2_PKdS4_EviT2_lllT3_lllT4_lT5_li: ; @_ZL18rocblas_rot_kernelIiLi512E19rocblas_complex_numIdEPS1_S2_PKdS4_EviT2_lllT3_lllT4_lT5_li
; %bb.0:
	s_load_b32 s28, s[0:1], 0x68
	s_bfe_u32 s2, ttmp6, 0x40014
	s_lshr_b32 s3, ttmp7, 16
	s_add_co_i32 s2, s2, 1
	s_bfe_u32 s4, ttmp6, 0x40008
	s_mul_i32 s2, s3, s2
	s_getreg_b32 s20, hwreg(HW_REG_IB_STS2, 6, 4)
	s_add_co_i32 s4, s4, s2
	s_cmp_eq_u32 s20, 0
	s_cselect_b32 s2, s3, s4
	s_mov_b32 s3, 0
	s_wait_kmcnt 0x0
	s_cmp_ge_u32 s2, s28
	s_cbranch_scc1 .LBB14_5
; %bb.1:
	s_clause 0x2
	s_load_b32 s30, s[0:1], 0x0
	s_load_b512 s[4:19], s[0:1], 0x8
	s_load_b32 s21, s[0:1], 0x7c
	s_bfe_u32 s22, ttmp6, 0x4000c
	s_and_b32 s23, ttmp6, 15
	s_add_co_i32 s22, s22, 1
	v_mov_b32_e32 v1, 0
	s_mul_i32 s22, ttmp9, s22
	s_delay_alu instid0(SALU_CYCLE_1)
	s_add_co_i32 s23, s23, s22
	s_wait_kmcnt 0x0
	s_ashr_i32 s31, s30, 31
	s_lshl_b64 s[6:7], s[6:7], 4
	s_lshl_b64 s[14:15], s[14:15], 4
	s_and_b32 s21, s21, 0xffff
	s_cmp_eq_u32 s20, 0
	s_cselect_b32 s20, ttmp9, s23
	s_delay_alu instid0(SALU_CYCLE_1) | instskip(SKIP_4) | instid1(VALU_DEP_1)
	v_mad_u32 v0, s20, s21, v0
	s_load_b256 s[20:27], s[0:1], 0x48
	s_wait_xcnt 0x0
	s_add_nc_u64 s[0:1], s[4:5], s[6:7]
	s_add_nc_u64 s[4:5], s[12:13], s[14:15]
	v_mul_u64_e32 v[2:3], s[8:9], v[0:1]
	v_mul_u64_e32 v[4:5], s[16:17], v[0:1]
	v_cmp_gt_i64_e32 vcc_lo, s[30:31], v[0:1]
	s_delay_alu instid0(VALU_DEP_3) | instskip(NEXT) | instid1(VALU_DEP_3)
	v_lshl_add_u64 v[2:3], v[2:3], 4, s[0:1]
	v_lshl_add_u64 v[4:5], v[4:5], 4, s[4:5]
	s_branch .LBB14_3
.LBB14_2:                               ;   in Loop: Header=BB14_3 Depth=1
	s_wait_xcnt 0x0
	s_or_b32 exec_lo, exec_lo, s0
	s_add_co_i32 s2, s2, 0x10000
	s_delay_alu instid0(SALU_CYCLE_1)
	s_cmp_lt_u32 s2, s28
	s_cbranch_scc0 .LBB14_5
.LBB14_3:                               ; =>This Inner Loop Header: Depth=1
	s_and_saveexec_b32 s0, vcc_lo
	s_cbranch_execz .LBB14_2
; %bb.4:                                ;   in Loop: Header=BB14_3 Depth=1
	s_mul_u64 s[4:5], s[18:19], s[2:3]
	s_wait_kmcnt 0x0
	s_mul_u64 s[6:7], s[26:27], s[2:3]
	s_mul_u64 s[8:9], s[10:11], s[2:3]
	s_lshl_b64 s[6:7], s[6:7], 3
	v_lshl_add_u64 v[18:19], s[4:5], 4, v[4:5]
	v_lshl_add_u64 v[20:21], s[8:9], 4, v[2:3]
	s_add_nc_u64 s[4:5], s[24:25], s[6:7]
	global_load_b64 v[16:17], v1, s[4:5]
	global_load_b128 v[6:9], v[18:19], off
	global_load_b128 v[10:13], v[20:21], off
	s_wait_xcnt 0x2
	s_mul_u64 s[4:5], s[22:23], s[2:3]
	s_delay_alu instid0(SALU_CYCLE_1) | instskip(NEXT) | instid1(SALU_CYCLE_1)
	s_lshl_b64 s[4:5], s[4:5], 3
	s_add_nc_u64 s[4:5], s[20:21], s[4:5]
	global_load_b64 v[22:23], v1, s[4:5]
	s_wait_loadcnt 0x2
	v_mul_f64_e32 v[14:15], v[16:17], v[6:7]
	s_wait_loadcnt 0x1
	v_mul_f64_e32 v[24:25], v[16:17], v[10:11]
	v_mul_f64_e32 v[26:27], v[16:17], v[12:13]
	;; [unrolled: 1-line block ×3, first 2 shown]
	s_wait_loadcnt 0x0
	s_delay_alu instid0(VALU_DEP_4) | instskip(NEXT) | instid1(VALU_DEP_4)
	v_fmac_f64_e32 v[14:15], v[22:23], v[10:11]
	v_fma_f64 v[6:7], v[22:23], v[6:7], -v[24:25]
	s_delay_alu instid0(VALU_DEP_4) | instskip(NEXT) | instid1(VALU_DEP_4)
	v_fma_f64 v[8:9], v[22:23], v[8:9], -v[26:27]
	v_fmac_f64_e32 v[16:17], v[22:23], v[12:13]
	global_store_b128 v[18:19], v[6:9], off
	global_store_b128 v[20:21], v[14:17], off
	s_branch .LBB14_2
.LBB14_5:
	s_endpgm
	.section	.rodata,"a",@progbits
	.p2align	6, 0x0
	.amdhsa_kernel _ZL18rocblas_rot_kernelIiLi512E19rocblas_complex_numIdEPS1_S2_PKdS4_EviT2_lllT3_lllT4_lT5_li
		.amdhsa_group_segment_fixed_size 0
		.amdhsa_private_segment_fixed_size 0
		.amdhsa_kernarg_size 368
		.amdhsa_user_sgpr_count 2
		.amdhsa_user_sgpr_dispatch_ptr 0
		.amdhsa_user_sgpr_queue_ptr 0
		.amdhsa_user_sgpr_kernarg_segment_ptr 1
		.amdhsa_user_sgpr_dispatch_id 0
		.amdhsa_user_sgpr_kernarg_preload_length 0
		.amdhsa_user_sgpr_kernarg_preload_offset 0
		.amdhsa_user_sgpr_private_segment_size 0
		.amdhsa_wavefront_size32 1
		.amdhsa_uses_dynamic_stack 0
		.amdhsa_enable_private_segment 0
		.amdhsa_system_sgpr_workgroup_id_x 1
		.amdhsa_system_sgpr_workgroup_id_y 0
		.amdhsa_system_sgpr_workgroup_id_z 1
		.amdhsa_system_sgpr_workgroup_info 0
		.amdhsa_system_vgpr_workitem_id 0
		.amdhsa_next_free_vgpr 28
		.amdhsa_next_free_sgpr 32
		.amdhsa_named_barrier_count 0
		.amdhsa_reserve_vcc 1
		.amdhsa_float_round_mode_32 0
		.amdhsa_float_round_mode_16_64 0
		.amdhsa_float_denorm_mode_32 3
		.amdhsa_float_denorm_mode_16_64 3
		.amdhsa_fp16_overflow 0
		.amdhsa_memory_ordered 1
		.amdhsa_forward_progress 1
		.amdhsa_inst_pref_size 4
		.amdhsa_round_robin_scheduling 0
		.amdhsa_exception_fp_ieee_invalid_op 0
		.amdhsa_exception_fp_denorm_src 0
		.amdhsa_exception_fp_ieee_div_zero 0
		.amdhsa_exception_fp_ieee_overflow 0
		.amdhsa_exception_fp_ieee_underflow 0
		.amdhsa_exception_fp_ieee_inexact 0
		.amdhsa_exception_int_div_zero 0
	.end_amdhsa_kernel
	.section	.text._ZL18rocblas_rot_kernelIiLi512E19rocblas_complex_numIdEPS1_S2_PKdS4_EviT2_lllT3_lllT4_lT5_li,"axG",@progbits,_ZL18rocblas_rot_kernelIiLi512E19rocblas_complex_numIdEPS1_S2_PKdS4_EviT2_lllT3_lllT4_lT5_li,comdat
.Lfunc_end14:
	.size	_ZL18rocblas_rot_kernelIiLi512E19rocblas_complex_numIdEPS1_S2_PKdS4_EviT2_lllT3_lllT4_lT5_li, .Lfunc_end14-_ZL18rocblas_rot_kernelIiLi512E19rocblas_complex_numIdEPS1_S2_PKdS4_EviT2_lllT3_lllT4_lT5_li
                                        ; -- End function
	.set _ZL18rocblas_rot_kernelIiLi512E19rocblas_complex_numIdEPS1_S2_PKdS4_EviT2_lllT3_lllT4_lT5_li.num_vgpr, 28
	.set _ZL18rocblas_rot_kernelIiLi512E19rocblas_complex_numIdEPS1_S2_PKdS4_EviT2_lllT3_lllT4_lT5_li.num_agpr, 0
	.set _ZL18rocblas_rot_kernelIiLi512E19rocblas_complex_numIdEPS1_S2_PKdS4_EviT2_lllT3_lllT4_lT5_li.numbered_sgpr, 32
	.set _ZL18rocblas_rot_kernelIiLi512E19rocblas_complex_numIdEPS1_S2_PKdS4_EviT2_lllT3_lllT4_lT5_li.num_named_barrier, 0
	.set _ZL18rocblas_rot_kernelIiLi512E19rocblas_complex_numIdEPS1_S2_PKdS4_EviT2_lllT3_lllT4_lT5_li.private_seg_size, 0
	.set _ZL18rocblas_rot_kernelIiLi512E19rocblas_complex_numIdEPS1_S2_PKdS4_EviT2_lllT3_lllT4_lT5_li.uses_vcc, 1
	.set _ZL18rocblas_rot_kernelIiLi512E19rocblas_complex_numIdEPS1_S2_PKdS4_EviT2_lllT3_lllT4_lT5_li.uses_flat_scratch, 0
	.set _ZL18rocblas_rot_kernelIiLi512E19rocblas_complex_numIdEPS1_S2_PKdS4_EviT2_lllT3_lllT4_lT5_li.has_dyn_sized_stack, 0
	.set _ZL18rocblas_rot_kernelIiLi512E19rocblas_complex_numIdEPS1_S2_PKdS4_EviT2_lllT3_lllT4_lT5_li.has_recursion, 0
	.set _ZL18rocblas_rot_kernelIiLi512E19rocblas_complex_numIdEPS1_S2_PKdS4_EviT2_lllT3_lllT4_lT5_li.has_indirect_call, 0
	.section	.AMDGPU.csdata,"",@progbits
; Kernel info:
; codeLenInByte = 464
; TotalNumSgprs: 34
; NumVgprs: 28
; ScratchSize: 0
; MemoryBound: 0
; FloatMode: 240
; IeeeMode: 1
; LDSByteSize: 0 bytes/workgroup (compile time only)
; SGPRBlocks: 0
; VGPRBlocks: 1
; NumSGPRsForWavesPerEU: 34
; NumVGPRsForWavesPerEU: 28
; NamedBarCnt: 0
; Occupancy: 16
; WaveLimiterHint : 0
; COMPUTE_PGM_RSRC2:SCRATCH_EN: 0
; COMPUTE_PGM_RSRC2:USER_SGPR: 2
; COMPUTE_PGM_RSRC2:TRAP_HANDLER: 0
; COMPUTE_PGM_RSRC2:TGID_X_EN: 1
; COMPUTE_PGM_RSRC2:TGID_Y_EN: 0
; COMPUTE_PGM_RSRC2:TGID_Z_EN: 1
; COMPUTE_PGM_RSRC2:TIDIG_COMP_CNT: 0
	.section	.text._ZL18rocblas_rot_kernelIiLi512E19rocblas_complex_numIdEPS1_S2_ddEviT2_lllT3_lllT4_lT5_li,"axG",@progbits,_ZL18rocblas_rot_kernelIiLi512E19rocblas_complex_numIdEPS1_S2_ddEviT2_lllT3_lllT4_lT5_li,comdat
	.globl	_ZL18rocblas_rot_kernelIiLi512E19rocblas_complex_numIdEPS1_S2_ddEviT2_lllT3_lllT4_lT5_li ; -- Begin function _ZL18rocblas_rot_kernelIiLi512E19rocblas_complex_numIdEPS1_S2_ddEviT2_lllT3_lllT4_lT5_li
	.p2align	8
	.type	_ZL18rocblas_rot_kernelIiLi512E19rocblas_complex_numIdEPS1_S2_ddEviT2_lllT3_lllT4_lT5_li,@function
_ZL18rocblas_rot_kernelIiLi512E19rocblas_complex_numIdEPS1_S2_ddEviT2_lllT3_lllT4_lT5_li: ; @_ZL18rocblas_rot_kernelIiLi512E19rocblas_complex_numIdEPS1_S2_ddEviT2_lllT3_lllT4_lT5_li
; %bb.0:
	s_load_b32 s20, s[0:1], 0x68
	s_bfe_u32 s2, ttmp6, 0x40014
	s_lshr_b32 s3, ttmp7, 16
	s_add_co_i32 s2, s2, 1
	s_bfe_u32 s4, ttmp6, 0x40008
	s_mul_i32 s2, s3, s2
	s_getreg_b32 s21, hwreg(HW_REG_IB_STS2, 6, 4)
	s_add_co_i32 s4, s4, s2
	s_cmp_eq_u32 s21, 0
	s_cselect_b32 s2, s3, s4
	s_mov_b32 s3, 0
	s_wait_kmcnt 0x0
	s_cmp_ge_u32 s2, s20
	s_cbranch_scc1 .LBB15_5
; %bb.1:
	s_clause 0x2
	s_load_b32 s22, s[0:1], 0x0
	s_load_b512 s[4:19], s[0:1], 0x8
	s_load_b32 s26, s[0:1], 0x7c
	s_bfe_u32 s23, ttmp6, 0x4000c
	s_and_b32 s24, ttmp6, 15
	s_add_co_i32 s23, s23, 1
	v_mov_b32_e32 v1, 0
	s_mul_i32 s23, ttmp9, s23
	s_delay_alu instid0(SALU_CYCLE_1)
	s_add_co_i32 s27, s24, s23
	s_wait_kmcnt 0x0
	s_ashr_i32 s23, s22, 31
	s_lshl_b64 s[24:25], s[6:7], 4
	s_lshl_b64 s[14:15], s[14:15], 4
	s_and_b32 s6, s26, 0xffff
	s_cmp_eq_u32 s21, 0
	s_cselect_b32 s7, ttmp9, s27
	s_delay_alu instid0(SALU_CYCLE_1) | instskip(NEXT) | instid1(VALU_DEP_1)
	v_mad_u32 v0, s7, s6, v0
	v_mul_u64_e32 v[2:3], s[8:9], v[0:1]
	v_mul_u64_e32 v[4:5], s[16:17], v[0:1]
	s_clause 0x1
	s_load_b64 s[6:7], s[0:1], 0x48
	s_load_b64 s[8:9], s[0:1], 0x58
	s_wait_xcnt 0x0
	s_add_nc_u64 s[0:1], s[4:5], s[24:25]
	s_add_nc_u64 s[4:5], s[12:13], s[14:15]
	v_cmp_gt_i64_e32 vcc_lo, s[22:23], v[0:1]
	s_delay_alu instid0(VALU_DEP_3) | instskip(NEXT) | instid1(VALU_DEP_3)
	v_lshl_add_u64 v[0:1], v[2:3], 4, s[0:1]
	v_lshl_add_u64 v[2:3], v[4:5], 4, s[4:5]
	s_branch .LBB15_3
.LBB15_2:                               ;   in Loop: Header=BB15_3 Depth=1
	s_wait_xcnt 0x0
	s_or_b32 exec_lo, exec_lo, s0
	s_add_co_i32 s2, s2, 0x10000
	s_delay_alu instid0(SALU_CYCLE_1)
	s_cmp_lt_u32 s2, s20
	s_cbranch_scc0 .LBB15_5
.LBB15_3:                               ; =>This Inner Loop Header: Depth=1
	s_and_saveexec_b32 s0, vcc_lo
	s_cbranch_execz .LBB15_2
; %bb.4:                                ;   in Loop: Header=BB15_3 Depth=1
	s_mul_u64 s[4:5], s[18:19], s[2:3]
	s_mul_u64 s[12:13], s[10:11], s[2:3]
	v_lshl_add_u64 v[16:17], s[4:5], 4, v[2:3]
	v_lshl_add_u64 v[18:19], s[12:13], 4, v[0:1]
	global_load_b128 v[4:7], v[16:17], off
	global_load_b128 v[8:11], v[18:19], off
	s_wait_loadcnt 0x1
	s_wait_kmcnt 0x0
	v_mul_f64_e32 v[12:13], s[8:9], v[4:5]
	s_wait_loadcnt 0x0
	v_mul_f64_e32 v[20:21], s[8:9], v[8:9]
	v_mul_f64_e32 v[22:23], s[8:9], v[10:11]
	v_mul_f64_e32 v[14:15], s[8:9], v[6:7]
	s_delay_alu instid0(VALU_DEP_4) | instskip(NEXT) | instid1(VALU_DEP_4)
	v_fmac_f64_e32 v[12:13], s[6:7], v[8:9]
	v_fma_f64 v[4:5], s[6:7], v[4:5], -v[20:21]
	s_delay_alu instid0(VALU_DEP_4) | instskip(NEXT) | instid1(VALU_DEP_4)
	v_fma_f64 v[6:7], s[6:7], v[6:7], -v[22:23]
	v_fmac_f64_e32 v[14:15], s[6:7], v[10:11]
	global_store_b128 v[16:17], v[4:7], off
	global_store_b128 v[18:19], v[12:15], off
	s_branch .LBB15_2
.LBB15_5:
	s_endpgm
	.section	.rodata,"a",@progbits
	.p2align	6, 0x0
	.amdhsa_kernel _ZL18rocblas_rot_kernelIiLi512E19rocblas_complex_numIdEPS1_S2_ddEviT2_lllT3_lllT4_lT5_li
		.amdhsa_group_segment_fixed_size 0
		.amdhsa_private_segment_fixed_size 0
		.amdhsa_kernarg_size 368
		.amdhsa_user_sgpr_count 2
		.amdhsa_user_sgpr_dispatch_ptr 0
		.amdhsa_user_sgpr_queue_ptr 0
		.amdhsa_user_sgpr_kernarg_segment_ptr 1
		.amdhsa_user_sgpr_dispatch_id 0
		.amdhsa_user_sgpr_kernarg_preload_length 0
		.amdhsa_user_sgpr_kernarg_preload_offset 0
		.amdhsa_user_sgpr_private_segment_size 0
		.amdhsa_wavefront_size32 1
		.amdhsa_uses_dynamic_stack 0
		.amdhsa_enable_private_segment 0
		.amdhsa_system_sgpr_workgroup_id_x 1
		.amdhsa_system_sgpr_workgroup_id_y 0
		.amdhsa_system_sgpr_workgroup_id_z 1
		.amdhsa_system_sgpr_workgroup_info 0
		.amdhsa_system_vgpr_workitem_id 0
		.amdhsa_next_free_vgpr 24
		.amdhsa_next_free_sgpr 28
		.amdhsa_named_barrier_count 0
		.amdhsa_reserve_vcc 1
		.amdhsa_float_round_mode_32 0
		.amdhsa_float_round_mode_16_64 0
		.amdhsa_float_denorm_mode_32 3
		.amdhsa_float_denorm_mode_16_64 3
		.amdhsa_fp16_overflow 0
		.amdhsa_memory_ordered 1
		.amdhsa_forward_progress 1
		.amdhsa_inst_pref_size 4
		.amdhsa_round_robin_scheduling 0
		.amdhsa_exception_fp_ieee_invalid_op 0
		.amdhsa_exception_fp_denorm_src 0
		.amdhsa_exception_fp_ieee_div_zero 0
		.amdhsa_exception_fp_ieee_overflow 0
		.amdhsa_exception_fp_ieee_underflow 0
		.amdhsa_exception_fp_ieee_inexact 0
		.amdhsa_exception_int_div_zero 0
	.end_amdhsa_kernel
	.section	.text._ZL18rocblas_rot_kernelIiLi512E19rocblas_complex_numIdEPS1_S2_ddEviT2_lllT3_lllT4_lT5_li,"axG",@progbits,_ZL18rocblas_rot_kernelIiLi512E19rocblas_complex_numIdEPS1_S2_ddEviT2_lllT3_lllT4_lT5_li,comdat
.Lfunc_end15:
	.size	_ZL18rocblas_rot_kernelIiLi512E19rocblas_complex_numIdEPS1_S2_ddEviT2_lllT3_lllT4_lT5_li, .Lfunc_end15-_ZL18rocblas_rot_kernelIiLi512E19rocblas_complex_numIdEPS1_S2_ddEviT2_lllT3_lllT4_lT5_li
                                        ; -- End function
	.set _ZL18rocblas_rot_kernelIiLi512E19rocblas_complex_numIdEPS1_S2_ddEviT2_lllT3_lllT4_lT5_li.num_vgpr, 24
	.set _ZL18rocblas_rot_kernelIiLi512E19rocblas_complex_numIdEPS1_S2_ddEviT2_lllT3_lllT4_lT5_li.num_agpr, 0
	.set _ZL18rocblas_rot_kernelIiLi512E19rocblas_complex_numIdEPS1_S2_ddEviT2_lllT3_lllT4_lT5_li.numbered_sgpr, 28
	.set _ZL18rocblas_rot_kernelIiLi512E19rocblas_complex_numIdEPS1_S2_ddEviT2_lllT3_lllT4_lT5_li.num_named_barrier, 0
	.set _ZL18rocblas_rot_kernelIiLi512E19rocblas_complex_numIdEPS1_S2_ddEviT2_lllT3_lllT4_lT5_li.private_seg_size, 0
	.set _ZL18rocblas_rot_kernelIiLi512E19rocblas_complex_numIdEPS1_S2_ddEviT2_lllT3_lllT4_lT5_li.uses_vcc, 1
	.set _ZL18rocblas_rot_kernelIiLi512E19rocblas_complex_numIdEPS1_S2_ddEviT2_lllT3_lllT4_lT5_li.uses_flat_scratch, 0
	.set _ZL18rocblas_rot_kernelIiLi512E19rocblas_complex_numIdEPS1_S2_ddEviT2_lllT3_lllT4_lT5_li.has_dyn_sized_stack, 0
	.set _ZL18rocblas_rot_kernelIiLi512E19rocblas_complex_numIdEPS1_S2_ddEviT2_lllT3_lllT4_lT5_li.has_recursion, 0
	.set _ZL18rocblas_rot_kernelIiLi512E19rocblas_complex_numIdEPS1_S2_ddEviT2_lllT3_lllT4_lT5_li.has_indirect_call, 0
	.section	.AMDGPU.csdata,"",@progbits
; Kernel info:
; codeLenInByte = 416
; TotalNumSgprs: 30
; NumVgprs: 24
; ScratchSize: 0
; MemoryBound: 0
; FloatMode: 240
; IeeeMode: 1
; LDSByteSize: 0 bytes/workgroup (compile time only)
; SGPRBlocks: 0
; VGPRBlocks: 1
; NumSGPRsForWavesPerEU: 30
; NumVGPRsForWavesPerEU: 24
; NamedBarCnt: 0
; Occupancy: 16
; WaveLimiterHint : 0
; COMPUTE_PGM_RSRC2:SCRATCH_EN: 0
; COMPUTE_PGM_RSRC2:USER_SGPR: 2
; COMPUTE_PGM_RSRC2:TRAP_HANDLER: 0
; COMPUTE_PGM_RSRC2:TGID_X_EN: 1
; COMPUTE_PGM_RSRC2:TGID_Y_EN: 0
; COMPUTE_PGM_RSRC2:TGID_Z_EN: 1
; COMPUTE_PGM_RSRC2:TIDIG_COMP_CNT: 0
	.section	.text._ZL18rocblas_rot_kernelIiLi512E19rocblas_complex_numIdEPS1_S2_PKdPKS1_EviT2_lllT3_lllT4_lT5_li,"axG",@progbits,_ZL18rocblas_rot_kernelIiLi512E19rocblas_complex_numIdEPS1_S2_PKdPKS1_EviT2_lllT3_lllT4_lT5_li,comdat
	.globl	_ZL18rocblas_rot_kernelIiLi512E19rocblas_complex_numIdEPS1_S2_PKdPKS1_EviT2_lllT3_lllT4_lT5_li ; -- Begin function _ZL18rocblas_rot_kernelIiLi512E19rocblas_complex_numIdEPS1_S2_PKdPKS1_EviT2_lllT3_lllT4_lT5_li
	.p2align	8
	.type	_ZL18rocblas_rot_kernelIiLi512E19rocblas_complex_numIdEPS1_S2_PKdPKS1_EviT2_lllT3_lllT4_lT5_li,@function
_ZL18rocblas_rot_kernelIiLi512E19rocblas_complex_numIdEPS1_S2_PKdPKS1_EviT2_lllT3_lllT4_lT5_li: ; @_ZL18rocblas_rot_kernelIiLi512E19rocblas_complex_numIdEPS1_S2_PKdPKS1_EviT2_lllT3_lllT4_lT5_li
; %bb.0:
	s_load_b32 s28, s[0:1], 0x68
	s_bfe_u32 s2, ttmp6, 0x40014
	s_lshr_b32 s3, ttmp7, 16
	s_add_co_i32 s2, s2, 1
	s_bfe_u32 s4, ttmp6, 0x40008
	s_mul_i32 s2, s3, s2
	s_getreg_b32 s20, hwreg(HW_REG_IB_STS2, 6, 4)
	s_add_co_i32 s4, s4, s2
	s_cmp_eq_u32 s20, 0
	s_cselect_b32 s2, s3, s4
	s_mov_b32 s3, 0
	s_wait_kmcnt 0x0
	s_cmp_ge_u32 s2, s28
	s_cbranch_scc1 .LBB16_5
; %bb.1:
	s_clause 0x2
	s_load_b32 s30, s[0:1], 0x0
	s_load_b512 s[4:19], s[0:1], 0x8
	s_load_b32 s21, s[0:1], 0x7c
	s_bfe_u32 s22, ttmp6, 0x4000c
	s_and_b32 s23, ttmp6, 15
	s_add_co_i32 s22, s22, 1
	v_mov_b32_e32 v1, 0
	s_mul_i32 s22, ttmp9, s22
	s_delay_alu instid0(SALU_CYCLE_1)
	s_add_co_i32 s23, s23, s22
	s_wait_kmcnt 0x0
	s_ashr_i32 s31, s30, 31
	s_lshl_b64 s[6:7], s[6:7], 4
	s_lshl_b64 s[14:15], s[14:15], 4
	s_and_b32 s21, s21, 0xffff
	s_cmp_eq_u32 s20, 0
	s_cselect_b32 s20, ttmp9, s23
	s_delay_alu instid0(SALU_CYCLE_1) | instskip(SKIP_4) | instid1(VALU_DEP_1)
	v_mad_u32 v0, s20, s21, v0
	s_load_b256 s[20:27], s[0:1], 0x48
	s_wait_xcnt 0x0
	s_add_nc_u64 s[0:1], s[4:5], s[6:7]
	s_add_nc_u64 s[4:5], s[12:13], s[14:15]
	v_mul_u64_e32 v[2:3], s[8:9], v[0:1]
	v_mul_u64_e32 v[4:5], s[16:17], v[0:1]
	v_cmp_gt_i64_e32 vcc_lo, s[30:31], v[0:1]
	s_delay_alu instid0(VALU_DEP_3) | instskip(NEXT) | instid1(VALU_DEP_3)
	v_lshl_add_u64 v[2:3], v[2:3], 4, s[0:1]
	v_lshl_add_u64 v[4:5], v[4:5], 4, s[4:5]
	s_branch .LBB16_3
.LBB16_2:                               ;   in Loop: Header=BB16_3 Depth=1
	s_wait_xcnt 0x0
	s_or_b32 exec_lo, exec_lo, s0
	s_add_co_i32 s2, s2, 0x10000
	s_delay_alu instid0(SALU_CYCLE_1)
	s_cmp_lt_u32 s2, s28
	s_cbranch_scc0 .LBB16_5
.LBB16_3:                               ; =>This Inner Loop Header: Depth=1
	s_and_saveexec_b32 s0, vcc_lo
	s_cbranch_execz .LBB16_2
; %bb.4:                                ;   in Loop: Header=BB16_3 Depth=1
	s_mul_u64 s[4:5], s[18:19], s[2:3]
	s_wait_kmcnt 0x0
	s_mul_u64 s[6:7], s[26:27], s[2:3]
	s_mul_u64 s[8:9], s[10:11], s[2:3]
	s_lshl_b64 s[6:7], s[6:7], 4
	v_lshl_add_u64 v[22:23], s[4:5], 4, v[4:5]
	v_lshl_add_u64 v[24:25], s[8:9], 4, v[2:3]
	s_add_nc_u64 s[4:5], s[24:25], s[6:7]
	global_load_b128 v[6:9], v1, s[4:5]
	global_load_b128 v[10:13], v[22:23], off
	global_load_b128 v[14:17], v[24:25], off
	s_wait_xcnt 0x2
	s_mul_u64 s[4:5], s[22:23], s[2:3]
	s_delay_alu instid0(SALU_CYCLE_1) | instskip(NEXT) | instid1(SALU_CYCLE_1)
	s_lshl_b64 s[4:5], s[4:5], 3
	s_add_nc_u64 s[4:5], s[20:21], s[4:5]
	global_load_b64 v[26:27], v1, s[4:5]
	s_wait_loadcnt 0x2
	v_mul_f64_e32 v[18:19], v[8:9], v[12:13]
	s_wait_loadcnt 0x1
	v_mul_f64_e32 v[28:29], v[8:9], v[16:17]
	v_mul_f64_e32 v[30:31], v[8:9], v[14:15]
	;; [unrolled: 1-line block ×3, first 2 shown]
	s_delay_alu instid0(VALU_DEP_4) | instskip(NEXT) | instid1(VALU_DEP_4)
	v_fma_f64 v[18:19], v[6:7], v[10:11], -v[18:19]
	v_fmac_f64_e32 v[28:29], v[6:7], v[14:15]
	s_delay_alu instid0(VALU_DEP_4) | instskip(NEXT) | instid1(VALU_DEP_4)
	v_fma_f64 v[30:31], v[6:7], v[16:17], -v[30:31]
	v_fmac_f64_e32 v[20:21], v[8:9], v[10:11]
	s_wait_loadcnt 0x0
	s_delay_alu instid0(VALU_DEP_4) | instskip(NEXT) | instid1(VALU_DEP_4)
	v_fmac_f64_e32 v[18:19], v[26:27], v[14:15]
	v_fma_f64 v[6:7], v[26:27], v[10:11], -v[28:29]
	s_delay_alu instid0(VALU_DEP_4) | instskip(NEXT) | instid1(VALU_DEP_4)
	v_fma_f64 v[8:9], v[26:27], v[12:13], -v[30:31]
	v_fmac_f64_e32 v[20:21], v[26:27], v[16:17]
	global_store_b128 v[22:23], v[6:9], off
	global_store_b128 v[24:25], v[18:21], off
	s_branch .LBB16_2
.LBB16_5:
	s_endpgm
	.section	.rodata,"a",@progbits
	.p2align	6, 0x0
	.amdhsa_kernel _ZL18rocblas_rot_kernelIiLi512E19rocblas_complex_numIdEPS1_S2_PKdPKS1_EviT2_lllT3_lllT4_lT5_li
		.amdhsa_group_segment_fixed_size 0
		.amdhsa_private_segment_fixed_size 0
		.amdhsa_kernarg_size 368
		.amdhsa_user_sgpr_count 2
		.amdhsa_user_sgpr_dispatch_ptr 0
		.amdhsa_user_sgpr_queue_ptr 0
		.amdhsa_user_sgpr_kernarg_segment_ptr 1
		.amdhsa_user_sgpr_dispatch_id 0
		.amdhsa_user_sgpr_kernarg_preload_length 0
		.amdhsa_user_sgpr_kernarg_preload_offset 0
		.amdhsa_user_sgpr_private_segment_size 0
		.amdhsa_wavefront_size32 1
		.amdhsa_uses_dynamic_stack 0
		.amdhsa_enable_private_segment 0
		.amdhsa_system_sgpr_workgroup_id_x 1
		.amdhsa_system_sgpr_workgroup_id_y 0
		.amdhsa_system_sgpr_workgroup_id_z 1
		.amdhsa_system_sgpr_workgroup_info 0
		.amdhsa_system_vgpr_workitem_id 0
		.amdhsa_next_free_vgpr 32
		.amdhsa_next_free_sgpr 32
		.amdhsa_named_barrier_count 0
		.amdhsa_reserve_vcc 1
		.amdhsa_float_round_mode_32 0
		.amdhsa_float_round_mode_16_64 0
		.amdhsa_float_denorm_mode_32 3
		.amdhsa_float_denorm_mode_16_64 3
		.amdhsa_fp16_overflow 0
		.amdhsa_memory_ordered 1
		.amdhsa_forward_progress 1
		.amdhsa_inst_pref_size 4
		.amdhsa_round_robin_scheduling 0
		.amdhsa_exception_fp_ieee_invalid_op 0
		.amdhsa_exception_fp_denorm_src 0
		.amdhsa_exception_fp_ieee_div_zero 0
		.amdhsa_exception_fp_ieee_overflow 0
		.amdhsa_exception_fp_ieee_underflow 0
		.amdhsa_exception_fp_ieee_inexact 0
		.amdhsa_exception_int_div_zero 0
	.end_amdhsa_kernel
	.section	.text._ZL18rocblas_rot_kernelIiLi512E19rocblas_complex_numIdEPS1_S2_PKdPKS1_EviT2_lllT3_lllT4_lT5_li,"axG",@progbits,_ZL18rocblas_rot_kernelIiLi512E19rocblas_complex_numIdEPS1_S2_PKdPKS1_EviT2_lllT3_lllT4_lT5_li,comdat
.Lfunc_end16:
	.size	_ZL18rocblas_rot_kernelIiLi512E19rocblas_complex_numIdEPS1_S2_PKdPKS1_EviT2_lllT3_lllT4_lT5_li, .Lfunc_end16-_ZL18rocblas_rot_kernelIiLi512E19rocblas_complex_numIdEPS1_S2_PKdPKS1_EviT2_lllT3_lllT4_lT5_li
                                        ; -- End function
	.set _ZL18rocblas_rot_kernelIiLi512E19rocblas_complex_numIdEPS1_S2_PKdPKS1_EviT2_lllT3_lllT4_lT5_li.num_vgpr, 32
	.set _ZL18rocblas_rot_kernelIiLi512E19rocblas_complex_numIdEPS1_S2_PKdPKS1_EviT2_lllT3_lllT4_lT5_li.num_agpr, 0
	.set _ZL18rocblas_rot_kernelIiLi512E19rocblas_complex_numIdEPS1_S2_PKdPKS1_EviT2_lllT3_lllT4_lT5_li.numbered_sgpr, 32
	.set _ZL18rocblas_rot_kernelIiLi512E19rocblas_complex_numIdEPS1_S2_PKdPKS1_EviT2_lllT3_lllT4_lT5_li.num_named_barrier, 0
	.set _ZL18rocblas_rot_kernelIiLi512E19rocblas_complex_numIdEPS1_S2_PKdPKS1_EviT2_lllT3_lllT4_lT5_li.private_seg_size, 0
	.set _ZL18rocblas_rot_kernelIiLi512E19rocblas_complex_numIdEPS1_S2_PKdPKS1_EviT2_lllT3_lllT4_lT5_li.uses_vcc, 1
	.set _ZL18rocblas_rot_kernelIiLi512E19rocblas_complex_numIdEPS1_S2_PKdPKS1_EviT2_lllT3_lllT4_lT5_li.uses_flat_scratch, 0
	.set _ZL18rocblas_rot_kernelIiLi512E19rocblas_complex_numIdEPS1_S2_PKdPKS1_EviT2_lllT3_lllT4_lT5_li.has_dyn_sized_stack, 0
	.set _ZL18rocblas_rot_kernelIiLi512E19rocblas_complex_numIdEPS1_S2_PKdPKS1_EviT2_lllT3_lllT4_lT5_li.has_recursion, 0
	.set _ZL18rocblas_rot_kernelIiLi512E19rocblas_complex_numIdEPS1_S2_PKdPKS1_EviT2_lllT3_lllT4_lT5_li.has_indirect_call, 0
	.section	.AMDGPU.csdata,"",@progbits
; Kernel info:
; codeLenInByte = 496
; TotalNumSgprs: 34
; NumVgprs: 32
; ScratchSize: 0
; MemoryBound: 0
; FloatMode: 240
; IeeeMode: 1
; LDSByteSize: 0 bytes/workgroup (compile time only)
; SGPRBlocks: 0
; VGPRBlocks: 1
; NumSGPRsForWavesPerEU: 34
; NumVGPRsForWavesPerEU: 32
; NamedBarCnt: 0
; Occupancy: 16
; WaveLimiterHint : 0
; COMPUTE_PGM_RSRC2:SCRATCH_EN: 0
; COMPUTE_PGM_RSRC2:USER_SGPR: 2
; COMPUTE_PGM_RSRC2:TRAP_HANDLER: 0
; COMPUTE_PGM_RSRC2:TGID_X_EN: 1
; COMPUTE_PGM_RSRC2:TGID_Y_EN: 0
; COMPUTE_PGM_RSRC2:TGID_Z_EN: 1
; COMPUTE_PGM_RSRC2:TIDIG_COMP_CNT: 0
	.section	.text._ZL18rocblas_rot_kernelIiLi512E19rocblas_complex_numIdEPS1_S2_dS1_EviT2_lllT3_lllT4_lT5_li,"axG",@progbits,_ZL18rocblas_rot_kernelIiLi512E19rocblas_complex_numIdEPS1_S2_dS1_EviT2_lllT3_lllT4_lT5_li,comdat
	.globl	_ZL18rocblas_rot_kernelIiLi512E19rocblas_complex_numIdEPS1_S2_dS1_EviT2_lllT3_lllT4_lT5_li ; -- Begin function _ZL18rocblas_rot_kernelIiLi512E19rocblas_complex_numIdEPS1_S2_dS1_EviT2_lllT3_lllT4_lT5_li
	.p2align	8
	.type	_ZL18rocblas_rot_kernelIiLi512E19rocblas_complex_numIdEPS1_S2_dS1_EviT2_lllT3_lllT4_lT5_li,@function
_ZL18rocblas_rot_kernelIiLi512E19rocblas_complex_numIdEPS1_S2_dS1_EviT2_lllT3_lllT4_lT5_li: ; @_ZL18rocblas_rot_kernelIiLi512E19rocblas_complex_numIdEPS1_S2_dS1_EviT2_lllT3_lllT4_lT5_li
; %bb.0:
	s_load_b32 s24, s[0:1], 0x70
	s_bfe_u32 s2, ttmp6, 0x40014
	s_lshr_b32 s3, ttmp7, 16
	s_add_co_i32 s2, s2, 1
	s_bfe_u32 s4, ttmp6, 0x40008
	s_mul_i32 s2, s3, s2
	s_getreg_b32 s20, hwreg(HW_REG_IB_STS2, 6, 4)
	s_add_co_i32 s4, s4, s2
	s_cmp_eq_u32 s20, 0
	s_cselect_b32 s2, s3, s4
	s_mov_b32 s3, 0
	s_wait_kmcnt 0x0
	s_cmp_ge_u32 s2, s24
	s_cbranch_scc1 .LBB17_5
; %bb.1:
	s_clause 0x2
	s_load_b32 s26, s[0:1], 0x0
	s_load_b512 s[4:19], s[0:1], 0x8
	s_load_b32 s21, s[0:1], 0x84
	s_bfe_u32 s22, ttmp6, 0x4000c
	s_and_b32 s23, ttmp6, 15
	s_add_co_i32 s22, s22, 1
	v_mov_b32_e32 v1, 0
	s_mul_i32 s22, ttmp9, s22
	s_delay_alu instid0(SALU_CYCLE_1)
	s_add_co_i32 s23, s23, s22
	s_wait_kmcnt 0x0
	s_ashr_i32 s27, s26, 31
	s_lshl_b64 s[28:29], s[6:7], 4
	s_lshl_b64 s[14:15], s[14:15], 4
	s_and_b32 s6, s21, 0xffff
	s_cmp_eq_u32 s20, 0
	s_cselect_b32 s7, ttmp9, s23
	s_delay_alu instid0(SALU_CYCLE_1)
	v_mad_u32 v0, s7, s6, v0
	s_clause 0x1
	s_load_b64 s[6:7], s[0:1], 0x48
	s_load_b128 s[20:23], s[0:1], 0x58
	s_wait_xcnt 0x0
	s_add_nc_u64 s[0:1], s[4:5], s[28:29]
	s_add_nc_u64 s[4:5], s[12:13], s[14:15]
	s_delay_alu instid0(VALU_DEP_1) | instskip(SKIP_2) | instid1(VALU_DEP_3)
	v_mul_u64_e32 v[2:3], s[8:9], v[0:1]
	v_mul_u64_e32 v[4:5], s[16:17], v[0:1]
	v_cmp_gt_i64_e32 vcc_lo, s[26:27], v[0:1]
	v_lshl_add_u64 v[0:1], v[2:3], 4, s[0:1]
	s_delay_alu instid0(VALU_DEP_3)
	v_lshl_add_u64 v[2:3], v[4:5], 4, s[4:5]
	s_branch .LBB17_3
.LBB17_2:                               ;   in Loop: Header=BB17_3 Depth=1
	s_wait_xcnt 0x0
	s_or_b32 exec_lo, exec_lo, s0
	s_add_co_i32 s2, s2, 0x10000
	s_delay_alu instid0(SALU_CYCLE_1)
	s_cmp_lt_u32 s2, s24
	s_cbranch_scc0 .LBB17_5
.LBB17_3:                               ; =>This Inner Loop Header: Depth=1
	s_and_saveexec_b32 s0, vcc_lo
	s_cbranch_execz .LBB17_2
; %bb.4:                                ;   in Loop: Header=BB17_3 Depth=1
	s_mul_u64 s[4:5], s[18:19], s[2:3]
	s_mul_u64 s[8:9], s[10:11], s[2:3]
	v_lshl_add_u64 v[16:17], s[4:5], 4, v[2:3]
	v_lshl_add_u64 v[18:19], s[8:9], 4, v[0:1]
	global_load_b128 v[4:7], v[16:17], off
	global_load_b128 v[8:11], v[18:19], off
	s_wait_loadcnt 0x1
	s_wait_kmcnt 0x0
	v_mul_f64_e32 v[12:13], s[22:23], v[6:7]
	s_wait_loadcnt 0x0
	v_mul_f64_e32 v[20:21], s[22:23], v[10:11]
	v_mul_f64_e32 v[22:23], s[22:23], v[8:9]
	;; [unrolled: 1-line block ×3, first 2 shown]
	s_delay_alu instid0(VALU_DEP_4) | instskip(NEXT) | instid1(VALU_DEP_4)
	v_fma_f64 v[12:13], s[20:21], v[4:5], -v[12:13]
	v_fmac_f64_e32 v[20:21], s[20:21], v[8:9]
	s_delay_alu instid0(VALU_DEP_4) | instskip(NEXT) | instid1(VALU_DEP_4)
	v_fma_f64 v[22:23], s[20:21], v[10:11], -v[22:23]
	v_fmac_f64_e32 v[14:15], s[22:23], v[4:5]
	s_delay_alu instid0(VALU_DEP_4) | instskip(NEXT) | instid1(VALU_DEP_4)
	v_fmac_f64_e32 v[12:13], s[6:7], v[8:9]
	v_fma_f64 v[4:5], s[6:7], v[4:5], -v[20:21]
	s_delay_alu instid0(VALU_DEP_4) | instskip(NEXT) | instid1(VALU_DEP_4)
	v_fma_f64 v[6:7], s[6:7], v[6:7], -v[22:23]
	v_fmac_f64_e32 v[14:15], s[6:7], v[10:11]
	global_store_b128 v[16:17], v[4:7], off
	global_store_b128 v[18:19], v[12:15], off
	s_branch .LBB17_2
.LBB17_5:
	s_endpgm
	.section	.rodata,"a",@progbits
	.p2align	6, 0x0
	.amdhsa_kernel _ZL18rocblas_rot_kernelIiLi512E19rocblas_complex_numIdEPS1_S2_dS1_EviT2_lllT3_lllT4_lT5_li
		.amdhsa_group_segment_fixed_size 0
		.amdhsa_private_segment_fixed_size 0
		.amdhsa_kernarg_size 376
		.amdhsa_user_sgpr_count 2
		.amdhsa_user_sgpr_dispatch_ptr 0
		.amdhsa_user_sgpr_queue_ptr 0
		.amdhsa_user_sgpr_kernarg_segment_ptr 1
		.amdhsa_user_sgpr_dispatch_id 0
		.amdhsa_user_sgpr_kernarg_preload_length 0
		.amdhsa_user_sgpr_kernarg_preload_offset 0
		.amdhsa_user_sgpr_private_segment_size 0
		.amdhsa_wavefront_size32 1
		.amdhsa_uses_dynamic_stack 0
		.amdhsa_enable_private_segment 0
		.amdhsa_system_sgpr_workgroup_id_x 1
		.amdhsa_system_sgpr_workgroup_id_y 0
		.amdhsa_system_sgpr_workgroup_id_z 1
		.amdhsa_system_sgpr_workgroup_info 0
		.amdhsa_system_vgpr_workitem_id 0
		.amdhsa_next_free_vgpr 24
		.amdhsa_next_free_sgpr 30
		.amdhsa_named_barrier_count 0
		.amdhsa_reserve_vcc 1
		.amdhsa_float_round_mode_32 0
		.amdhsa_float_round_mode_16_64 0
		.amdhsa_float_denorm_mode_32 3
		.amdhsa_float_denorm_mode_16_64 3
		.amdhsa_fp16_overflow 0
		.amdhsa_memory_ordered 1
		.amdhsa_forward_progress 1
		.amdhsa_inst_pref_size 4
		.amdhsa_round_robin_scheduling 0
		.amdhsa_exception_fp_ieee_invalid_op 0
		.amdhsa_exception_fp_denorm_src 0
		.amdhsa_exception_fp_ieee_div_zero 0
		.amdhsa_exception_fp_ieee_overflow 0
		.amdhsa_exception_fp_ieee_underflow 0
		.amdhsa_exception_fp_ieee_inexact 0
		.amdhsa_exception_int_div_zero 0
	.end_amdhsa_kernel
	.section	.text._ZL18rocblas_rot_kernelIiLi512E19rocblas_complex_numIdEPS1_S2_dS1_EviT2_lllT3_lllT4_lT5_li,"axG",@progbits,_ZL18rocblas_rot_kernelIiLi512E19rocblas_complex_numIdEPS1_S2_dS1_EviT2_lllT3_lllT4_lT5_li,comdat
.Lfunc_end17:
	.size	_ZL18rocblas_rot_kernelIiLi512E19rocblas_complex_numIdEPS1_S2_dS1_EviT2_lllT3_lllT4_lT5_li, .Lfunc_end17-_ZL18rocblas_rot_kernelIiLi512E19rocblas_complex_numIdEPS1_S2_dS1_EviT2_lllT3_lllT4_lT5_li
                                        ; -- End function
	.set _ZL18rocblas_rot_kernelIiLi512E19rocblas_complex_numIdEPS1_S2_dS1_EviT2_lllT3_lllT4_lT5_li.num_vgpr, 24
	.set _ZL18rocblas_rot_kernelIiLi512E19rocblas_complex_numIdEPS1_S2_dS1_EviT2_lllT3_lllT4_lT5_li.num_agpr, 0
	.set _ZL18rocblas_rot_kernelIiLi512E19rocblas_complex_numIdEPS1_S2_dS1_EviT2_lllT3_lllT4_lT5_li.numbered_sgpr, 30
	.set _ZL18rocblas_rot_kernelIiLi512E19rocblas_complex_numIdEPS1_S2_dS1_EviT2_lllT3_lllT4_lT5_li.num_named_barrier, 0
	.set _ZL18rocblas_rot_kernelIiLi512E19rocblas_complex_numIdEPS1_S2_dS1_EviT2_lllT3_lllT4_lT5_li.private_seg_size, 0
	.set _ZL18rocblas_rot_kernelIiLi512E19rocblas_complex_numIdEPS1_S2_dS1_EviT2_lllT3_lllT4_lT5_li.uses_vcc, 1
	.set _ZL18rocblas_rot_kernelIiLi512E19rocblas_complex_numIdEPS1_S2_dS1_EviT2_lllT3_lllT4_lT5_li.uses_flat_scratch, 0
	.set _ZL18rocblas_rot_kernelIiLi512E19rocblas_complex_numIdEPS1_S2_dS1_EviT2_lllT3_lllT4_lT5_li.has_dyn_sized_stack, 0
	.set _ZL18rocblas_rot_kernelIiLi512E19rocblas_complex_numIdEPS1_S2_dS1_EviT2_lllT3_lllT4_lT5_li.has_recursion, 0
	.set _ZL18rocblas_rot_kernelIiLi512E19rocblas_complex_numIdEPS1_S2_dS1_EviT2_lllT3_lllT4_lT5_li.has_indirect_call, 0
	.section	.AMDGPU.csdata,"",@progbits
; Kernel info:
; codeLenInByte = 452
; TotalNumSgprs: 32
; NumVgprs: 24
; ScratchSize: 0
; MemoryBound: 0
; FloatMode: 240
; IeeeMode: 1
; LDSByteSize: 0 bytes/workgroup (compile time only)
; SGPRBlocks: 0
; VGPRBlocks: 1
; NumSGPRsForWavesPerEU: 32
; NumVGPRsForWavesPerEU: 24
; NamedBarCnt: 0
; Occupancy: 16
; WaveLimiterHint : 0
; COMPUTE_PGM_RSRC2:SCRATCH_EN: 0
; COMPUTE_PGM_RSRC2:USER_SGPR: 2
; COMPUTE_PGM_RSRC2:TRAP_HANDLER: 0
; COMPUTE_PGM_RSRC2:TGID_X_EN: 1
; COMPUTE_PGM_RSRC2:TGID_Y_EN: 0
; COMPUTE_PGM_RSRC2:TGID_Z_EN: 1
; COMPUTE_PGM_RSRC2:TIDIG_COMP_CNT: 0
	.section	.text._ZL18rocblas_rot_kernelIiLi512E19rocblas_complex_numIdEPS1_S2_PKS1_S4_EviT2_lllT3_lllT4_lT5_li,"axG",@progbits,_ZL18rocblas_rot_kernelIiLi512E19rocblas_complex_numIdEPS1_S2_PKS1_S4_EviT2_lllT3_lllT4_lT5_li,comdat
	.globl	_ZL18rocblas_rot_kernelIiLi512E19rocblas_complex_numIdEPS1_S2_PKS1_S4_EviT2_lllT3_lllT4_lT5_li ; -- Begin function _ZL18rocblas_rot_kernelIiLi512E19rocblas_complex_numIdEPS1_S2_PKS1_S4_EviT2_lllT3_lllT4_lT5_li
	.p2align	8
	.type	_ZL18rocblas_rot_kernelIiLi512E19rocblas_complex_numIdEPS1_S2_PKS1_S4_EviT2_lllT3_lllT4_lT5_li,@function
_ZL18rocblas_rot_kernelIiLi512E19rocblas_complex_numIdEPS1_S2_PKS1_S4_EviT2_lllT3_lllT4_lT5_li: ; @_ZL18rocblas_rot_kernelIiLi512E19rocblas_complex_numIdEPS1_S2_PKS1_S4_EviT2_lllT3_lllT4_lT5_li
; %bb.0:
	s_load_b32 s28, s[0:1], 0x68
	s_bfe_u32 s2, ttmp6, 0x40014
	s_lshr_b32 s3, ttmp7, 16
	s_add_co_i32 s2, s2, 1
	s_bfe_u32 s4, ttmp6, 0x40008
	s_mul_i32 s2, s3, s2
	s_getreg_b32 s20, hwreg(HW_REG_IB_STS2, 6, 4)
	s_add_co_i32 s4, s4, s2
	s_cmp_eq_u32 s20, 0
	s_cselect_b32 s2, s3, s4
	s_mov_b32 s3, 0
	s_wait_kmcnt 0x0
	s_cmp_ge_u32 s2, s28
	s_cbranch_scc1 .LBB18_5
; %bb.1:
	s_clause 0x2
	s_load_b32 s30, s[0:1], 0x0
	s_load_b512 s[4:19], s[0:1], 0x8
	s_load_b32 s21, s[0:1], 0x7c
	s_bfe_u32 s22, ttmp6, 0x4000c
	s_and_b32 s23, ttmp6, 15
	s_add_co_i32 s22, s22, 1
	v_mov_b32_e32 v1, 0
	s_mul_i32 s22, ttmp9, s22
	s_delay_alu instid0(SALU_CYCLE_1)
	s_add_co_i32 s23, s23, s22
	s_wait_kmcnt 0x0
	s_ashr_i32 s31, s30, 31
	s_lshl_b64 s[6:7], s[6:7], 4
	s_lshl_b64 s[14:15], s[14:15], 4
	s_and_b32 s21, s21, 0xffff
	s_cmp_eq_u32 s20, 0
	s_cselect_b32 s20, ttmp9, s23
	s_delay_alu instid0(SALU_CYCLE_1) | instskip(SKIP_4) | instid1(VALU_DEP_1)
	v_mad_u32 v0, s20, s21, v0
	s_load_b256 s[20:27], s[0:1], 0x48
	s_wait_xcnt 0x0
	s_add_nc_u64 s[0:1], s[4:5], s[6:7]
	s_add_nc_u64 s[4:5], s[12:13], s[14:15]
	v_mul_u64_e32 v[2:3], s[8:9], v[0:1]
	v_mul_u64_e32 v[4:5], s[16:17], v[0:1]
	v_cmp_gt_i64_e32 vcc_lo, s[30:31], v[0:1]
	s_delay_alu instid0(VALU_DEP_3) | instskip(NEXT) | instid1(VALU_DEP_3)
	v_lshl_add_u64 v[2:3], v[2:3], 4, s[0:1]
	v_lshl_add_u64 v[4:5], v[4:5], 4, s[4:5]
	s_branch .LBB18_3
.LBB18_2:                               ;   in Loop: Header=BB18_3 Depth=1
	s_wait_xcnt 0x0
	s_or_b32 exec_lo, exec_lo, s0
	s_add_co_i32 s2, s2, 0x10000
	s_delay_alu instid0(SALU_CYCLE_1)
	s_cmp_lt_u32 s2, s28
	s_cbranch_scc0 .LBB18_5
.LBB18_3:                               ; =>This Inner Loop Header: Depth=1
	s_and_saveexec_b32 s0, vcc_lo
	s_cbranch_execz .LBB18_2
; %bb.4:                                ;   in Loop: Header=BB18_3 Depth=1
	s_mul_u64 s[4:5], s[18:19], s[2:3]
	s_wait_kmcnt 0x0
	s_mul_u64 s[6:7], s[26:27], s[2:3]
	s_mul_u64 s[8:9], s[10:11], s[2:3]
	s_lshl_b64 s[6:7], s[6:7], 4
	v_lshl_add_u64 v[22:23], s[4:5], 4, v[4:5]
	v_lshl_add_u64 v[24:25], s[8:9], 4, v[2:3]
	s_add_nc_u64 s[4:5], s[24:25], s[6:7]
	global_load_b128 v[6:9], v1, s[4:5]
	global_load_b128 v[10:13], v[22:23], off
	global_load_b128 v[14:17], v[24:25], off
	s_wait_xcnt 0x2
	s_mul_u64 s[4:5], s[22:23], s[2:3]
	s_delay_alu instid0(SALU_CYCLE_1) | instskip(NEXT) | instid1(SALU_CYCLE_1)
	s_lshl_b64 s[4:5], s[4:5], 4
	s_add_nc_u64 s[4:5], s[20:21], s[4:5]
	global_load_b64 v[26:27], v1, s[4:5]
	s_wait_loadcnt 0x2
	v_mul_f64_e32 v[18:19], v[8:9], v[12:13]
	s_wait_loadcnt 0x1
	v_mul_f64_e32 v[28:29], v[8:9], v[16:17]
	v_mul_f64_e32 v[30:31], v[8:9], v[14:15]
	;; [unrolled: 1-line block ×3, first 2 shown]
	s_delay_alu instid0(VALU_DEP_4) | instskip(NEXT) | instid1(VALU_DEP_4)
	v_fma_f64 v[18:19], v[6:7], v[10:11], -v[18:19]
	v_fmac_f64_e32 v[28:29], v[6:7], v[14:15]
	s_delay_alu instid0(VALU_DEP_4) | instskip(NEXT) | instid1(VALU_DEP_4)
	v_fma_f64 v[30:31], v[6:7], v[16:17], -v[30:31]
	v_fmac_f64_e32 v[20:21], v[8:9], v[10:11]
	s_wait_loadcnt 0x0
	s_delay_alu instid0(VALU_DEP_4) | instskip(NEXT) | instid1(VALU_DEP_4)
	v_fmac_f64_e32 v[18:19], v[26:27], v[14:15]
	v_fma_f64 v[6:7], v[26:27], v[10:11], -v[28:29]
	s_delay_alu instid0(VALU_DEP_4) | instskip(NEXT) | instid1(VALU_DEP_4)
	v_fma_f64 v[8:9], v[26:27], v[12:13], -v[30:31]
	v_fmac_f64_e32 v[20:21], v[26:27], v[16:17]
	global_store_b128 v[22:23], v[6:9], off
	global_store_b128 v[24:25], v[18:21], off
	s_branch .LBB18_2
.LBB18_5:
	s_endpgm
	.section	.rodata,"a",@progbits
	.p2align	6, 0x0
	.amdhsa_kernel _ZL18rocblas_rot_kernelIiLi512E19rocblas_complex_numIdEPS1_S2_PKS1_S4_EviT2_lllT3_lllT4_lT5_li
		.amdhsa_group_segment_fixed_size 0
		.amdhsa_private_segment_fixed_size 0
		.amdhsa_kernarg_size 368
		.amdhsa_user_sgpr_count 2
		.amdhsa_user_sgpr_dispatch_ptr 0
		.amdhsa_user_sgpr_queue_ptr 0
		.amdhsa_user_sgpr_kernarg_segment_ptr 1
		.amdhsa_user_sgpr_dispatch_id 0
		.amdhsa_user_sgpr_kernarg_preload_length 0
		.amdhsa_user_sgpr_kernarg_preload_offset 0
		.amdhsa_user_sgpr_private_segment_size 0
		.amdhsa_wavefront_size32 1
		.amdhsa_uses_dynamic_stack 0
		.amdhsa_enable_private_segment 0
		.amdhsa_system_sgpr_workgroup_id_x 1
		.amdhsa_system_sgpr_workgroup_id_y 0
		.amdhsa_system_sgpr_workgroup_id_z 1
		.amdhsa_system_sgpr_workgroup_info 0
		.amdhsa_system_vgpr_workitem_id 0
		.amdhsa_next_free_vgpr 32
		.amdhsa_next_free_sgpr 32
		.amdhsa_named_barrier_count 0
		.amdhsa_reserve_vcc 1
		.amdhsa_float_round_mode_32 0
		.amdhsa_float_round_mode_16_64 0
		.amdhsa_float_denorm_mode_32 3
		.amdhsa_float_denorm_mode_16_64 3
		.amdhsa_fp16_overflow 0
		.amdhsa_memory_ordered 1
		.amdhsa_forward_progress 1
		.amdhsa_inst_pref_size 4
		.amdhsa_round_robin_scheduling 0
		.amdhsa_exception_fp_ieee_invalid_op 0
		.amdhsa_exception_fp_denorm_src 0
		.amdhsa_exception_fp_ieee_div_zero 0
		.amdhsa_exception_fp_ieee_overflow 0
		.amdhsa_exception_fp_ieee_underflow 0
		.amdhsa_exception_fp_ieee_inexact 0
		.amdhsa_exception_int_div_zero 0
	.end_amdhsa_kernel
	.section	.text._ZL18rocblas_rot_kernelIiLi512E19rocblas_complex_numIdEPS1_S2_PKS1_S4_EviT2_lllT3_lllT4_lT5_li,"axG",@progbits,_ZL18rocblas_rot_kernelIiLi512E19rocblas_complex_numIdEPS1_S2_PKS1_S4_EviT2_lllT3_lllT4_lT5_li,comdat
.Lfunc_end18:
	.size	_ZL18rocblas_rot_kernelIiLi512E19rocblas_complex_numIdEPS1_S2_PKS1_S4_EviT2_lllT3_lllT4_lT5_li, .Lfunc_end18-_ZL18rocblas_rot_kernelIiLi512E19rocblas_complex_numIdEPS1_S2_PKS1_S4_EviT2_lllT3_lllT4_lT5_li
                                        ; -- End function
	.set _ZL18rocblas_rot_kernelIiLi512E19rocblas_complex_numIdEPS1_S2_PKS1_S4_EviT2_lllT3_lllT4_lT5_li.num_vgpr, 32
	.set _ZL18rocblas_rot_kernelIiLi512E19rocblas_complex_numIdEPS1_S2_PKS1_S4_EviT2_lllT3_lllT4_lT5_li.num_agpr, 0
	.set _ZL18rocblas_rot_kernelIiLi512E19rocblas_complex_numIdEPS1_S2_PKS1_S4_EviT2_lllT3_lllT4_lT5_li.numbered_sgpr, 32
	.set _ZL18rocblas_rot_kernelIiLi512E19rocblas_complex_numIdEPS1_S2_PKS1_S4_EviT2_lllT3_lllT4_lT5_li.num_named_barrier, 0
	.set _ZL18rocblas_rot_kernelIiLi512E19rocblas_complex_numIdEPS1_S2_PKS1_S4_EviT2_lllT3_lllT4_lT5_li.private_seg_size, 0
	.set _ZL18rocblas_rot_kernelIiLi512E19rocblas_complex_numIdEPS1_S2_PKS1_S4_EviT2_lllT3_lllT4_lT5_li.uses_vcc, 1
	.set _ZL18rocblas_rot_kernelIiLi512E19rocblas_complex_numIdEPS1_S2_PKS1_S4_EviT2_lllT3_lllT4_lT5_li.uses_flat_scratch, 0
	.set _ZL18rocblas_rot_kernelIiLi512E19rocblas_complex_numIdEPS1_S2_PKS1_S4_EviT2_lllT3_lllT4_lT5_li.has_dyn_sized_stack, 0
	.set _ZL18rocblas_rot_kernelIiLi512E19rocblas_complex_numIdEPS1_S2_PKS1_S4_EviT2_lllT3_lllT4_lT5_li.has_recursion, 0
	.set _ZL18rocblas_rot_kernelIiLi512E19rocblas_complex_numIdEPS1_S2_PKS1_S4_EviT2_lllT3_lllT4_lT5_li.has_indirect_call, 0
	.section	.AMDGPU.csdata,"",@progbits
; Kernel info:
; codeLenInByte = 496
; TotalNumSgprs: 34
; NumVgprs: 32
; ScratchSize: 0
; MemoryBound: 0
; FloatMode: 240
; IeeeMode: 1
; LDSByteSize: 0 bytes/workgroup (compile time only)
; SGPRBlocks: 0
; VGPRBlocks: 1
; NumSGPRsForWavesPerEU: 34
; NumVGPRsForWavesPerEU: 32
; NamedBarCnt: 0
; Occupancy: 16
; WaveLimiterHint : 0
; COMPUTE_PGM_RSRC2:SCRATCH_EN: 0
; COMPUTE_PGM_RSRC2:USER_SGPR: 2
; COMPUTE_PGM_RSRC2:TRAP_HANDLER: 0
; COMPUTE_PGM_RSRC2:TGID_X_EN: 1
; COMPUTE_PGM_RSRC2:TGID_Y_EN: 0
; COMPUTE_PGM_RSRC2:TGID_Z_EN: 1
; COMPUTE_PGM_RSRC2:TIDIG_COMP_CNT: 0
	.section	.text._ZL18rocblas_rot_kernelIiLi512E19rocblas_complex_numIdEPS1_S2_S1_S1_EviT2_lllT3_lllT4_lT5_li,"axG",@progbits,_ZL18rocblas_rot_kernelIiLi512E19rocblas_complex_numIdEPS1_S2_S1_S1_EviT2_lllT3_lllT4_lT5_li,comdat
	.globl	_ZL18rocblas_rot_kernelIiLi512E19rocblas_complex_numIdEPS1_S2_S1_S1_EviT2_lllT3_lllT4_lT5_li ; -- Begin function _ZL18rocblas_rot_kernelIiLi512E19rocblas_complex_numIdEPS1_S2_S1_S1_EviT2_lllT3_lllT4_lT5_li
	.p2align	8
	.type	_ZL18rocblas_rot_kernelIiLi512E19rocblas_complex_numIdEPS1_S2_S1_S1_EviT2_lllT3_lllT4_lT5_li,@function
_ZL18rocblas_rot_kernelIiLi512E19rocblas_complex_numIdEPS1_S2_S1_S1_EviT2_lllT3_lllT4_lT5_li: ; @_ZL18rocblas_rot_kernelIiLi512E19rocblas_complex_numIdEPS1_S2_S1_S1_EviT2_lllT3_lllT4_lT5_li
; %bb.0:
	s_load_b32 s24, s[0:1], 0x78
	s_bfe_u32 s2, ttmp6, 0x40014
	s_lshr_b32 s3, ttmp7, 16
	s_add_co_i32 s2, s2, 1
	s_bfe_u32 s4, ttmp6, 0x40008
	s_mul_i32 s2, s3, s2
	s_getreg_b32 s20, hwreg(HW_REG_IB_STS2, 6, 4)
	s_add_co_i32 s4, s4, s2
	s_cmp_eq_u32 s20, 0
	s_cselect_b32 s2, s3, s4
	s_mov_b32 s3, 0
	s_wait_kmcnt 0x0
	s_cmp_ge_u32 s2, s24
	s_cbranch_scc1 .LBB19_5
; %bb.1:
	s_clause 0x2
	s_load_b32 s26, s[0:1], 0x0
	s_load_b512 s[4:19], s[0:1], 0x8
	s_load_b32 s21, s[0:1], 0x8c
	s_bfe_u32 s22, ttmp6, 0x4000c
	s_and_b32 s23, ttmp6, 15
	s_add_co_i32 s22, s22, 1
	v_mov_b32_e32 v1, 0
	s_mul_i32 s22, ttmp9, s22
	s_delay_alu instid0(SALU_CYCLE_1)
	s_add_co_i32 s23, s23, s22
	s_wait_kmcnt 0x0
	s_ashr_i32 s27, s26, 31
	s_lshl_b64 s[28:29], s[6:7], 4
	s_lshl_b64 s[14:15], s[14:15], 4
	s_and_b32 s6, s21, 0xffff
	s_cmp_eq_u32 s20, 0
	s_cselect_b32 s7, ttmp9, s23
	s_delay_alu instid0(SALU_CYCLE_1)
	v_mad_u32 v0, s7, s6, v0
	s_clause 0x1
	s_load_b64 s[6:7], s[0:1], 0x48
	s_load_b128 s[20:23], s[0:1], 0x60
	s_wait_xcnt 0x0
	s_add_nc_u64 s[0:1], s[4:5], s[28:29]
	s_add_nc_u64 s[4:5], s[12:13], s[14:15]
	s_delay_alu instid0(VALU_DEP_1) | instskip(SKIP_2) | instid1(VALU_DEP_3)
	v_mul_u64_e32 v[2:3], s[8:9], v[0:1]
	v_mul_u64_e32 v[4:5], s[16:17], v[0:1]
	v_cmp_gt_i64_e32 vcc_lo, s[26:27], v[0:1]
	v_lshl_add_u64 v[0:1], v[2:3], 4, s[0:1]
	s_delay_alu instid0(VALU_DEP_3)
	v_lshl_add_u64 v[2:3], v[4:5], 4, s[4:5]
	s_branch .LBB19_3
.LBB19_2:                               ;   in Loop: Header=BB19_3 Depth=1
	s_wait_xcnt 0x0
	s_or_b32 exec_lo, exec_lo, s0
	s_add_co_i32 s2, s2, 0x10000
	s_delay_alu instid0(SALU_CYCLE_1)
	s_cmp_lt_u32 s2, s24
	s_cbranch_scc0 .LBB19_5
.LBB19_3:                               ; =>This Inner Loop Header: Depth=1
	s_and_saveexec_b32 s0, vcc_lo
	s_cbranch_execz .LBB19_2
; %bb.4:                                ;   in Loop: Header=BB19_3 Depth=1
	s_mul_u64 s[4:5], s[18:19], s[2:3]
	s_mul_u64 s[8:9], s[10:11], s[2:3]
	v_lshl_add_u64 v[16:17], s[4:5], 4, v[2:3]
	v_lshl_add_u64 v[18:19], s[8:9], 4, v[0:1]
	global_load_b128 v[4:7], v[16:17], off
	global_load_b128 v[8:11], v[18:19], off
	s_wait_loadcnt 0x1
	s_wait_kmcnt 0x0
	v_mul_f64_e32 v[12:13], s[22:23], v[6:7]
	s_wait_loadcnt 0x0
	v_mul_f64_e32 v[20:21], s[22:23], v[10:11]
	v_mul_f64_e32 v[22:23], s[22:23], v[8:9]
	;; [unrolled: 1-line block ×3, first 2 shown]
	s_delay_alu instid0(VALU_DEP_4) | instskip(NEXT) | instid1(VALU_DEP_4)
	v_fma_f64 v[12:13], s[20:21], v[4:5], -v[12:13]
	v_fmac_f64_e32 v[20:21], s[20:21], v[8:9]
	s_delay_alu instid0(VALU_DEP_4) | instskip(NEXT) | instid1(VALU_DEP_4)
	v_fma_f64 v[22:23], s[20:21], v[10:11], -v[22:23]
	v_fmac_f64_e32 v[14:15], s[22:23], v[4:5]
	s_delay_alu instid0(VALU_DEP_4) | instskip(NEXT) | instid1(VALU_DEP_4)
	v_fmac_f64_e32 v[12:13], s[6:7], v[8:9]
	v_fma_f64 v[4:5], s[6:7], v[4:5], -v[20:21]
	s_delay_alu instid0(VALU_DEP_4) | instskip(NEXT) | instid1(VALU_DEP_4)
	v_fma_f64 v[6:7], s[6:7], v[6:7], -v[22:23]
	v_fmac_f64_e32 v[14:15], s[6:7], v[10:11]
	global_store_b128 v[16:17], v[4:7], off
	global_store_b128 v[18:19], v[12:15], off
	s_branch .LBB19_2
.LBB19_5:
	s_endpgm
	.section	.rodata,"a",@progbits
	.p2align	6, 0x0
	.amdhsa_kernel _ZL18rocblas_rot_kernelIiLi512E19rocblas_complex_numIdEPS1_S2_S1_S1_EviT2_lllT3_lllT4_lT5_li
		.amdhsa_group_segment_fixed_size 0
		.amdhsa_private_segment_fixed_size 0
		.amdhsa_kernarg_size 384
		.amdhsa_user_sgpr_count 2
		.amdhsa_user_sgpr_dispatch_ptr 0
		.amdhsa_user_sgpr_queue_ptr 0
		.amdhsa_user_sgpr_kernarg_segment_ptr 1
		.amdhsa_user_sgpr_dispatch_id 0
		.amdhsa_user_sgpr_kernarg_preload_length 0
		.amdhsa_user_sgpr_kernarg_preload_offset 0
		.amdhsa_user_sgpr_private_segment_size 0
		.amdhsa_wavefront_size32 1
		.amdhsa_uses_dynamic_stack 0
		.amdhsa_enable_private_segment 0
		.amdhsa_system_sgpr_workgroup_id_x 1
		.amdhsa_system_sgpr_workgroup_id_y 0
		.amdhsa_system_sgpr_workgroup_id_z 1
		.amdhsa_system_sgpr_workgroup_info 0
		.amdhsa_system_vgpr_workitem_id 0
		.amdhsa_next_free_vgpr 24
		.amdhsa_next_free_sgpr 30
		.amdhsa_named_barrier_count 0
		.amdhsa_reserve_vcc 1
		.amdhsa_float_round_mode_32 0
		.amdhsa_float_round_mode_16_64 0
		.amdhsa_float_denorm_mode_32 3
		.amdhsa_float_denorm_mode_16_64 3
		.amdhsa_fp16_overflow 0
		.amdhsa_memory_ordered 1
		.amdhsa_forward_progress 1
		.amdhsa_inst_pref_size 4
		.amdhsa_round_robin_scheduling 0
		.amdhsa_exception_fp_ieee_invalid_op 0
		.amdhsa_exception_fp_denorm_src 0
		.amdhsa_exception_fp_ieee_div_zero 0
		.amdhsa_exception_fp_ieee_overflow 0
		.amdhsa_exception_fp_ieee_underflow 0
		.amdhsa_exception_fp_ieee_inexact 0
		.amdhsa_exception_int_div_zero 0
	.end_amdhsa_kernel
	.section	.text._ZL18rocblas_rot_kernelIiLi512E19rocblas_complex_numIdEPS1_S2_S1_S1_EviT2_lllT3_lllT4_lT5_li,"axG",@progbits,_ZL18rocblas_rot_kernelIiLi512E19rocblas_complex_numIdEPS1_S2_S1_S1_EviT2_lllT3_lllT4_lT5_li,comdat
.Lfunc_end19:
	.size	_ZL18rocblas_rot_kernelIiLi512E19rocblas_complex_numIdEPS1_S2_S1_S1_EviT2_lllT3_lllT4_lT5_li, .Lfunc_end19-_ZL18rocblas_rot_kernelIiLi512E19rocblas_complex_numIdEPS1_S2_S1_S1_EviT2_lllT3_lllT4_lT5_li
                                        ; -- End function
	.set _ZL18rocblas_rot_kernelIiLi512E19rocblas_complex_numIdEPS1_S2_S1_S1_EviT2_lllT3_lllT4_lT5_li.num_vgpr, 24
	.set _ZL18rocblas_rot_kernelIiLi512E19rocblas_complex_numIdEPS1_S2_S1_S1_EviT2_lllT3_lllT4_lT5_li.num_agpr, 0
	.set _ZL18rocblas_rot_kernelIiLi512E19rocblas_complex_numIdEPS1_S2_S1_S1_EviT2_lllT3_lllT4_lT5_li.numbered_sgpr, 30
	.set _ZL18rocblas_rot_kernelIiLi512E19rocblas_complex_numIdEPS1_S2_S1_S1_EviT2_lllT3_lllT4_lT5_li.num_named_barrier, 0
	.set _ZL18rocblas_rot_kernelIiLi512E19rocblas_complex_numIdEPS1_S2_S1_S1_EviT2_lllT3_lllT4_lT5_li.private_seg_size, 0
	.set _ZL18rocblas_rot_kernelIiLi512E19rocblas_complex_numIdEPS1_S2_S1_S1_EviT2_lllT3_lllT4_lT5_li.uses_vcc, 1
	.set _ZL18rocblas_rot_kernelIiLi512E19rocblas_complex_numIdEPS1_S2_S1_S1_EviT2_lllT3_lllT4_lT5_li.uses_flat_scratch, 0
	.set _ZL18rocblas_rot_kernelIiLi512E19rocblas_complex_numIdEPS1_S2_S1_S1_EviT2_lllT3_lllT4_lT5_li.has_dyn_sized_stack, 0
	.set _ZL18rocblas_rot_kernelIiLi512E19rocblas_complex_numIdEPS1_S2_S1_S1_EviT2_lllT3_lllT4_lT5_li.has_recursion, 0
	.set _ZL18rocblas_rot_kernelIiLi512E19rocblas_complex_numIdEPS1_S2_S1_S1_EviT2_lllT3_lllT4_lT5_li.has_indirect_call, 0
	.section	.AMDGPU.csdata,"",@progbits
; Kernel info:
; codeLenInByte = 452
; TotalNumSgprs: 32
; NumVgprs: 24
; ScratchSize: 0
; MemoryBound: 0
; FloatMode: 240
; IeeeMode: 1
; LDSByteSize: 0 bytes/workgroup (compile time only)
; SGPRBlocks: 0
; VGPRBlocks: 1
; NumSGPRsForWavesPerEU: 32
; NumVGPRsForWavesPerEU: 24
; NamedBarCnt: 0
; Occupancy: 16
; WaveLimiterHint : 0
; COMPUTE_PGM_RSRC2:SCRATCH_EN: 0
; COMPUTE_PGM_RSRC2:USER_SGPR: 2
; COMPUTE_PGM_RSRC2:TRAP_HANDLER: 0
; COMPUTE_PGM_RSRC2:TGID_X_EN: 1
; COMPUTE_PGM_RSRC2:TGID_Y_EN: 0
; COMPUTE_PGM_RSRC2:TGID_Z_EN: 1
; COMPUTE_PGM_RSRC2:TIDIG_COMP_CNT: 0
	.section	.text._ZL18rocblas_rot_kernelIiLi512EfPKPfS2_PKfS4_EviT2_lllT3_lllT4_lT5_li,"axG",@progbits,_ZL18rocblas_rot_kernelIiLi512EfPKPfS2_PKfS4_EviT2_lllT3_lllT4_lT5_li,comdat
	.globl	_ZL18rocblas_rot_kernelIiLi512EfPKPfS2_PKfS4_EviT2_lllT3_lllT4_lT5_li ; -- Begin function _ZL18rocblas_rot_kernelIiLi512EfPKPfS2_PKfS4_EviT2_lllT3_lllT4_lT5_li
	.p2align	8
	.type	_ZL18rocblas_rot_kernelIiLi512EfPKPfS2_PKfS4_EviT2_lllT3_lllT4_lT5_li,@function
_ZL18rocblas_rot_kernelIiLi512EfPKPfS2_PKfS4_EviT2_lllT3_lllT4_lT5_li: ; @_ZL18rocblas_rot_kernelIiLi512EfPKPfS2_PKfS4_EviT2_lllT3_lllT4_lT5_li
; %bb.0:
	s_load_b32 s20, s[0:1], 0x68
	s_bfe_u32 s2, ttmp6, 0x40014
	s_lshr_b32 s3, ttmp7, 16
	s_add_co_i32 s2, s2, 1
	s_bfe_u32 s5, ttmp6, 0x40008
	s_mul_i32 s2, s3, s2
	s_getreg_b32 s4, hwreg(HW_REG_IB_STS2, 6, 4)
	s_add_co_i32 s5, s5, s2
	s_cmp_eq_u32 s4, 0
	s_cselect_b32 s2, s3, s5
	s_mov_b32 s3, 0
	s_wait_kmcnt 0x0
	s_cmp_ge_u32 s2, s20
	s_cbranch_scc1 .LBB20_5
; %bb.1:
	s_clause 0x2
	s_load_b32 s22, s[0:1], 0x0
	s_load_b32 s5, s[0:1], 0x7c
	s_load_b128 s[12:15], s[0:1], 0x8
	s_bfe_u32 s8, ttmp6, 0x4000c
	s_clause 0x1
	s_load_b64 s[6:7], s[0:1], 0x18
	s_load_b128 s[16:19], s[0:1], 0x28
	s_add_co_i32 s8, s8, 1
	s_and_b32 s10, ttmp6, 15
	s_mul_i32 s11, ttmp9, s8
	s_load_b64 s[8:9], s[0:1], 0x38
	s_add_co_i32 s10, s10, s11
	v_mov_b32_e32 v1, 0
	s_wait_kmcnt 0x0
	s_ashr_i32 s23, s22, 31
	s_and_b32 s5, s5, 0xffff
	s_cmp_eq_u32 s4, 0
	s_cselect_b32 s4, ttmp9, s10
	s_lshl_b64 s[14:15], s[14:15], 2
	v_mad_u32 v0, s4, s5, v0
	s_delay_alu instid0(VALU_DEP_1)
	v_mul_u64_e32 v[2:3], s[6:7], v[0:1]
	v_mul_u64_e32 v[4:5], s[8:9], v[0:1]
	s_load_b256 s[4:11], s[0:1], 0x48
	s_wait_xcnt 0x0
	s_lshl_b64 s[0:1], s[18:19], 2
	v_cmp_gt_i64_e32 vcc_lo, s[22:23], v[0:1]
	s_branch .LBB20_3
.LBB20_2:                               ;   in Loop: Header=BB20_3 Depth=1
	s_wait_xcnt 0x0
	s_or_b32 exec_lo, exec_lo, s18
	s_add_co_i32 s2, s2, 0x10000
	s_delay_alu instid0(SALU_CYCLE_1)
	s_cmp_lt_u32 s2, s20
	s_cbranch_scc0 .LBB20_5
.LBB20_3:                               ; =>This Inner Loop Header: Depth=1
	s_and_saveexec_b32 s18, vcc_lo
	s_cbranch_execz .LBB20_2
; %bb.4:                                ;   in Loop: Header=BB20_3 Depth=1
	s_load_b64 s[22:23], s[16:17], s2 offset:0x0 scale_offset
	s_load_b64 s[24:25], s[12:13], s2 offset:0x0 scale_offset
	s_wait_kmcnt 0x0
	s_add_nc_u64 s[22:23], s[22:23], s[0:1]
	s_add_nc_u64 s[24:25], s[24:25], s[14:15]
	s_delay_alu instid0(VALU_DEP_2) | instskip(NEXT) | instid1(VALU_DEP_4)
	v_lshl_add_u64 v[6:7], v[4:5], 2, s[22:23]
	v_lshl_add_u64 v[8:9], v[2:3], 2, s[24:25]
	s_mul_u64 s[22:23], s[10:11], s[2:3]
	s_mul_u64 s[24:25], s[6:7], s[2:3]
	s_lshl_b64 s[22:23], s[22:23], 2
	flat_load_b32 v11, v[6:7]
	flat_load_b32 v10, v[8:9]
	s_lshl_b64 s[24:25], s[24:25], 2
	s_add_nc_u64 s[22:23], s[8:9], s[22:23]
	s_add_nc_u64 s[24:25], s[4:5], s[24:25]
	s_clause 0x1
	global_load_b32 v13, v1, s[22:23]
	global_load_b32 v12, v1, s[24:25]
	s_wait_loadcnt_dscnt 0x200
	v_dual_mov_b32 v14, v11 :: v_dual_mov_b32 v15, v10
	s_wait_loadcnt 0x0
	v_pk_mul_f32 v[10:11], v[12:13], v[10:11]
	s_delay_alu instid0(VALU_DEP_2) | instskip(NEXT) | instid1(VALU_DEP_2)
	v_pk_mul_f32 v[14:15], v[12:13], v[14:15]
	v_add_f32_e32 v10, v10, v11
	s_delay_alu instid0(VALU_DEP_2)
	v_sub_f32_e32 v0, v14, v15
	flat_store_b32 v[6:7], v0
	flat_store_b32 v[8:9], v10
	s_branch .LBB20_2
.LBB20_5:
	s_endpgm
	.section	.rodata,"a",@progbits
	.p2align	6, 0x0
	.amdhsa_kernel _ZL18rocblas_rot_kernelIiLi512EfPKPfS2_PKfS4_EviT2_lllT3_lllT4_lT5_li
		.amdhsa_group_segment_fixed_size 0
		.amdhsa_private_segment_fixed_size 0
		.amdhsa_kernarg_size 368
		.amdhsa_user_sgpr_count 2
		.amdhsa_user_sgpr_dispatch_ptr 0
		.amdhsa_user_sgpr_queue_ptr 0
		.amdhsa_user_sgpr_kernarg_segment_ptr 1
		.amdhsa_user_sgpr_dispatch_id 0
		.amdhsa_user_sgpr_kernarg_preload_length 0
		.amdhsa_user_sgpr_kernarg_preload_offset 0
		.amdhsa_user_sgpr_private_segment_size 0
		.amdhsa_wavefront_size32 1
		.amdhsa_uses_dynamic_stack 0
		.amdhsa_enable_private_segment 0
		.amdhsa_system_sgpr_workgroup_id_x 1
		.amdhsa_system_sgpr_workgroup_id_y 0
		.amdhsa_system_sgpr_workgroup_id_z 1
		.amdhsa_system_sgpr_workgroup_info 0
		.amdhsa_system_vgpr_workitem_id 0
		.amdhsa_next_free_vgpr 16
		.amdhsa_next_free_sgpr 26
		.amdhsa_named_barrier_count 0
		.amdhsa_reserve_vcc 1
		.amdhsa_float_round_mode_32 0
		.amdhsa_float_round_mode_16_64 0
		.amdhsa_float_denorm_mode_32 3
		.amdhsa_float_denorm_mode_16_64 3
		.amdhsa_fp16_overflow 0
		.amdhsa_memory_ordered 1
		.amdhsa_forward_progress 1
		.amdhsa_inst_pref_size 4
		.amdhsa_round_robin_scheduling 0
		.amdhsa_exception_fp_ieee_invalid_op 0
		.amdhsa_exception_fp_denorm_src 0
		.amdhsa_exception_fp_ieee_div_zero 0
		.amdhsa_exception_fp_ieee_overflow 0
		.amdhsa_exception_fp_ieee_underflow 0
		.amdhsa_exception_fp_ieee_inexact 0
		.amdhsa_exception_int_div_zero 0
	.end_amdhsa_kernel
	.section	.text._ZL18rocblas_rot_kernelIiLi512EfPKPfS2_PKfS4_EviT2_lllT3_lllT4_lT5_li,"axG",@progbits,_ZL18rocblas_rot_kernelIiLi512EfPKPfS2_PKfS4_EviT2_lllT3_lllT4_lT5_li,comdat
.Lfunc_end20:
	.size	_ZL18rocblas_rot_kernelIiLi512EfPKPfS2_PKfS4_EviT2_lllT3_lllT4_lT5_li, .Lfunc_end20-_ZL18rocblas_rot_kernelIiLi512EfPKPfS2_PKfS4_EviT2_lllT3_lllT4_lT5_li
                                        ; -- End function
	.set _ZL18rocblas_rot_kernelIiLi512EfPKPfS2_PKfS4_EviT2_lllT3_lllT4_lT5_li.num_vgpr, 16
	.set _ZL18rocblas_rot_kernelIiLi512EfPKPfS2_PKfS4_EviT2_lllT3_lllT4_lT5_li.num_agpr, 0
	.set _ZL18rocblas_rot_kernelIiLi512EfPKPfS2_PKfS4_EviT2_lllT3_lllT4_lT5_li.numbered_sgpr, 26
	.set _ZL18rocblas_rot_kernelIiLi512EfPKPfS2_PKfS4_EviT2_lllT3_lllT4_lT5_li.num_named_barrier, 0
	.set _ZL18rocblas_rot_kernelIiLi512EfPKPfS2_PKfS4_EviT2_lllT3_lllT4_lT5_li.private_seg_size, 0
	.set _ZL18rocblas_rot_kernelIiLi512EfPKPfS2_PKfS4_EviT2_lllT3_lllT4_lT5_li.uses_vcc, 1
	.set _ZL18rocblas_rot_kernelIiLi512EfPKPfS2_PKfS4_EviT2_lllT3_lllT4_lT5_li.uses_flat_scratch, 0
	.set _ZL18rocblas_rot_kernelIiLi512EfPKPfS2_PKfS4_EviT2_lllT3_lllT4_lT5_li.has_dyn_sized_stack, 0
	.set _ZL18rocblas_rot_kernelIiLi512EfPKPfS2_PKfS4_EviT2_lllT3_lllT4_lT5_li.has_recursion, 0
	.set _ZL18rocblas_rot_kernelIiLi512EfPKPfS2_PKfS4_EviT2_lllT3_lllT4_lT5_li.has_indirect_call, 0
	.section	.AMDGPU.csdata,"",@progbits
; Kernel info:
; codeLenInByte = 464
; TotalNumSgprs: 28
; NumVgprs: 16
; ScratchSize: 0
; MemoryBound: 0
; FloatMode: 240
; IeeeMode: 1
; LDSByteSize: 0 bytes/workgroup (compile time only)
; SGPRBlocks: 0
; VGPRBlocks: 0
; NumSGPRsForWavesPerEU: 28
; NumVGPRsForWavesPerEU: 16
; NamedBarCnt: 0
; Occupancy: 16
; WaveLimiterHint : 1
; COMPUTE_PGM_RSRC2:SCRATCH_EN: 0
; COMPUTE_PGM_RSRC2:USER_SGPR: 2
; COMPUTE_PGM_RSRC2:TRAP_HANDLER: 0
; COMPUTE_PGM_RSRC2:TGID_X_EN: 1
; COMPUTE_PGM_RSRC2:TGID_Y_EN: 0
; COMPUTE_PGM_RSRC2:TGID_Z_EN: 1
; COMPUTE_PGM_RSRC2:TIDIG_COMP_CNT: 0
	.section	.text._ZL18rocblas_rot_kernelIiLi512EfPKPfS2_ffEviT2_lllT3_lllT4_lT5_li,"axG",@progbits,_ZL18rocblas_rot_kernelIiLi512EfPKPfS2_ffEviT2_lllT3_lllT4_lT5_li,comdat
	.globl	_ZL18rocblas_rot_kernelIiLi512EfPKPfS2_ffEviT2_lllT3_lllT4_lT5_li ; -- Begin function _ZL18rocblas_rot_kernelIiLi512EfPKPfS2_ffEviT2_lllT3_lllT4_lT5_li
	.p2align	8
	.type	_ZL18rocblas_rot_kernelIiLi512EfPKPfS2_ffEviT2_lllT3_lllT4_lT5_li,@function
_ZL18rocblas_rot_kernelIiLi512EfPKPfS2_ffEviT2_lllT3_lllT4_lT5_li: ; @_ZL18rocblas_rot_kernelIiLi512EfPKPfS2_ffEviT2_lllT3_lllT4_lT5_li
; %bb.0:
	s_load_b32 s12, s[0:1], 0x68
	s_bfe_u32 s2, ttmp6, 0x40014
	s_lshr_b32 s3, ttmp7, 16
	s_add_co_i32 s2, s2, 1
	s_bfe_u32 s5, ttmp6, 0x40008
	s_mul_i32 s4, s3, s2
	s_getreg_b32 s2, hwreg(HW_REG_IB_STS2, 6, 4)
	s_add_co_i32 s5, s5, s4
	s_cmp_eq_u32 s2, 0
	s_cselect_b32 s13, s3, s5
	s_wait_kmcnt 0x0
	s_cmp_ge_u32 s13, s12
	s_cbranch_scc1 .LBB21_5
; %bb.1:
	s_clause 0x2
	s_load_b32 s14, s[0:1], 0x0
	s_load_b32 s3, s[0:1], 0x7c
	s_load_b128 s[4:7], s[0:1], 0x8
	s_bfe_u32 s8, ttmp6, 0x4000c
	s_clause 0x1
	s_load_b64 s[16:17], s[0:1], 0x18
	s_load_b64 s[18:19], s[0:1], 0x38
	s_add_co_i32 s8, s8, 1
	s_and_b32 s9, ttmp6, 15
	s_mul_i32 s8, ttmp9, s8
	v_mov_b32_e32 v5, 0
	s_add_co_i32 s9, s9, s8
	s_wait_kmcnt 0x0
	s_ashr_i32 s15, s14, 31
	s_and_b32 s3, s3, 0xffff
	s_cmp_eq_u32 s2, 0
	s_cselect_b32 s2, ttmp9, s9
	s_lshl_b64 s[6:7], s[6:7], 2
	v_mad_u32 v4, s2, s3, v0
	s_clause 0x2
	s_load_b32 s2, s[0:1], 0x48
	s_load_b32 s3, s[0:1], 0x58
	s_load_b128 s[8:11], s[0:1], 0x28
	s_delay_alu instid0(VALU_DEP_1)
	v_mul_u64_e32 v[0:1], s[16:17], v[4:5]
	v_mul_u64_e32 v[2:3], s[18:19], v[4:5]
	v_cmp_gt_i64_e32 vcc_lo, s[14:15], v[4:5]
	s_wait_kmcnt 0x0
	s_lshl_b64 s[0:1], s[10:11], 2
	s_branch .LBB21_3
.LBB21_2:                               ;   in Loop: Header=BB21_3 Depth=1
	s_wait_xcnt 0x0
	s_or_b32 exec_lo, exec_lo, s10
	s_add_co_i32 s13, s13, 0x10000
	s_delay_alu instid0(SALU_CYCLE_1)
	s_cmp_lt_u32 s13, s12
	s_cbranch_scc0 .LBB21_5
.LBB21_3:                               ; =>This Inner Loop Header: Depth=1
	s_and_saveexec_b32 s10, vcc_lo
	s_cbranch_execz .LBB21_2
; %bb.4:                                ;   in Loop: Header=BB21_3 Depth=1
	s_load_b64 s[14:15], s[8:9], s13 offset:0x0 scale_offset
	s_load_b64 s[16:17], s[4:5], s13 offset:0x0 scale_offset
	v_mov_b64_e32 v[10:11], s[2:3]
	s_wait_kmcnt 0x0
	s_add_nc_u64 s[14:15], s[14:15], s[0:1]
	s_add_nc_u64 s[16:17], s[16:17], s[6:7]
	s_delay_alu instid0(VALU_DEP_3)
	v_lshl_add_u64 v[4:5], v[2:3], 2, s[14:15]
	v_lshl_add_u64 v[6:7], v[0:1], 2, s[16:17]
	flat_load_b32 v9, v[4:5]
	flat_load_b32 v8, v[6:7]
	s_wait_loadcnt_dscnt 0x0
	v_dual_mov_b32 v12, v9 :: v_dual_mov_b32 v13, v8
	v_pk_mul_f32 v[8:9], v[10:11], v[8:9]
	s_delay_alu instid0(VALU_DEP_2) | instskip(NEXT) | instid1(VALU_DEP_2)
	v_pk_mul_f32 v[12:13], v[10:11], v[12:13]
	v_add_f32_e32 v8, v8, v9
	s_delay_alu instid0(VALU_DEP_2)
	v_sub_f32_e32 v10, v12, v13
	flat_store_b32 v[4:5], v10
	flat_store_b32 v[6:7], v8
	s_branch .LBB21_2
.LBB21_5:
	s_endpgm
	.section	.rodata,"a",@progbits
	.p2align	6, 0x0
	.amdhsa_kernel _ZL18rocblas_rot_kernelIiLi512EfPKPfS2_ffEviT2_lllT3_lllT4_lT5_li
		.amdhsa_group_segment_fixed_size 0
		.amdhsa_private_segment_fixed_size 0
		.amdhsa_kernarg_size 368
		.amdhsa_user_sgpr_count 2
		.amdhsa_user_sgpr_dispatch_ptr 0
		.amdhsa_user_sgpr_queue_ptr 0
		.amdhsa_user_sgpr_kernarg_segment_ptr 1
		.amdhsa_user_sgpr_dispatch_id 0
		.amdhsa_user_sgpr_kernarg_preload_length 0
		.amdhsa_user_sgpr_kernarg_preload_offset 0
		.amdhsa_user_sgpr_private_segment_size 0
		.amdhsa_wavefront_size32 1
		.amdhsa_uses_dynamic_stack 0
		.amdhsa_enable_private_segment 0
		.amdhsa_system_sgpr_workgroup_id_x 1
		.amdhsa_system_sgpr_workgroup_id_y 0
		.amdhsa_system_sgpr_workgroup_id_z 1
		.amdhsa_system_sgpr_workgroup_info 0
		.amdhsa_system_vgpr_workitem_id 0
		.amdhsa_next_free_vgpr 14
		.amdhsa_next_free_sgpr 20
		.amdhsa_named_barrier_count 0
		.amdhsa_reserve_vcc 1
		.amdhsa_float_round_mode_32 0
		.amdhsa_float_round_mode_16_64 0
		.amdhsa_float_denorm_mode_32 3
		.amdhsa_float_denorm_mode_16_64 3
		.amdhsa_fp16_overflow 0
		.amdhsa_memory_ordered 1
		.amdhsa_forward_progress 1
		.amdhsa_inst_pref_size 4
		.amdhsa_round_robin_scheduling 0
		.amdhsa_exception_fp_ieee_invalid_op 0
		.amdhsa_exception_fp_denorm_src 0
		.amdhsa_exception_fp_ieee_div_zero 0
		.amdhsa_exception_fp_ieee_overflow 0
		.amdhsa_exception_fp_ieee_underflow 0
		.amdhsa_exception_fp_ieee_inexact 0
		.amdhsa_exception_int_div_zero 0
	.end_amdhsa_kernel
	.section	.text._ZL18rocblas_rot_kernelIiLi512EfPKPfS2_ffEviT2_lllT3_lllT4_lT5_li,"axG",@progbits,_ZL18rocblas_rot_kernelIiLi512EfPKPfS2_ffEviT2_lllT3_lllT4_lT5_li,comdat
.Lfunc_end21:
	.size	_ZL18rocblas_rot_kernelIiLi512EfPKPfS2_ffEviT2_lllT3_lllT4_lT5_li, .Lfunc_end21-_ZL18rocblas_rot_kernelIiLi512EfPKPfS2_ffEviT2_lllT3_lllT4_lT5_li
                                        ; -- End function
	.set _ZL18rocblas_rot_kernelIiLi512EfPKPfS2_ffEviT2_lllT3_lllT4_lT5_li.num_vgpr, 14
	.set _ZL18rocblas_rot_kernelIiLi512EfPKPfS2_ffEviT2_lllT3_lllT4_lT5_li.num_agpr, 0
	.set _ZL18rocblas_rot_kernelIiLi512EfPKPfS2_ffEviT2_lllT3_lllT4_lT5_li.numbered_sgpr, 20
	.set _ZL18rocblas_rot_kernelIiLi512EfPKPfS2_ffEviT2_lllT3_lllT4_lT5_li.num_named_barrier, 0
	.set _ZL18rocblas_rot_kernelIiLi512EfPKPfS2_ffEviT2_lllT3_lllT4_lT5_li.private_seg_size, 0
	.set _ZL18rocblas_rot_kernelIiLi512EfPKPfS2_ffEviT2_lllT3_lllT4_lT5_li.uses_vcc, 1
	.set _ZL18rocblas_rot_kernelIiLi512EfPKPfS2_ffEviT2_lllT3_lllT4_lT5_li.uses_flat_scratch, 0
	.set _ZL18rocblas_rot_kernelIiLi512EfPKPfS2_ffEviT2_lllT3_lllT4_lT5_li.has_dyn_sized_stack, 0
	.set _ZL18rocblas_rot_kernelIiLi512EfPKPfS2_ffEviT2_lllT3_lllT4_lT5_li.has_recursion, 0
	.set _ZL18rocblas_rot_kernelIiLi512EfPKPfS2_ffEviT2_lllT3_lllT4_lT5_li.has_indirect_call, 0
	.section	.AMDGPU.csdata,"",@progbits
; Kernel info:
; codeLenInByte = 420
; TotalNumSgprs: 22
; NumVgprs: 14
; ScratchSize: 0
; MemoryBound: 0
; FloatMode: 240
; IeeeMode: 1
; LDSByteSize: 0 bytes/workgroup (compile time only)
; SGPRBlocks: 0
; VGPRBlocks: 0
; NumSGPRsForWavesPerEU: 22
; NumVGPRsForWavesPerEU: 14
; NamedBarCnt: 0
; Occupancy: 16
; WaveLimiterHint : 1
; COMPUTE_PGM_RSRC2:SCRATCH_EN: 0
; COMPUTE_PGM_RSRC2:USER_SGPR: 2
; COMPUTE_PGM_RSRC2:TRAP_HANDLER: 0
; COMPUTE_PGM_RSRC2:TGID_X_EN: 1
; COMPUTE_PGM_RSRC2:TGID_Y_EN: 0
; COMPUTE_PGM_RSRC2:TGID_Z_EN: 1
; COMPUTE_PGM_RSRC2:TIDIG_COMP_CNT: 0
	.section	.text._ZL18rocblas_rot_kernelIiLi512EdPKPdS2_PKdS4_EviT2_lllT3_lllT4_lT5_li,"axG",@progbits,_ZL18rocblas_rot_kernelIiLi512EdPKPdS2_PKdS4_EviT2_lllT3_lllT4_lT5_li,comdat
	.globl	_ZL18rocblas_rot_kernelIiLi512EdPKPdS2_PKdS4_EviT2_lllT3_lllT4_lT5_li ; -- Begin function _ZL18rocblas_rot_kernelIiLi512EdPKPdS2_PKdS4_EviT2_lllT3_lllT4_lT5_li
	.p2align	8
	.type	_ZL18rocblas_rot_kernelIiLi512EdPKPdS2_PKdS4_EviT2_lllT3_lllT4_lT5_li,@function
_ZL18rocblas_rot_kernelIiLi512EdPKPdS2_PKdS4_EviT2_lllT3_lllT4_lT5_li: ; @_ZL18rocblas_rot_kernelIiLi512EdPKPdS2_PKdS4_EviT2_lllT3_lllT4_lT5_li
; %bb.0:
	s_load_b32 s20, s[0:1], 0x68
	s_bfe_u32 s2, ttmp6, 0x40014
	s_lshr_b32 s3, ttmp7, 16
	s_add_co_i32 s2, s2, 1
	s_bfe_u32 s5, ttmp6, 0x40008
	s_mul_i32 s2, s3, s2
	s_getreg_b32 s4, hwreg(HW_REG_IB_STS2, 6, 4)
	s_add_co_i32 s5, s5, s2
	s_cmp_eq_u32 s4, 0
	s_cselect_b32 s2, s3, s5
	s_mov_b32 s3, 0
	s_wait_kmcnt 0x0
	s_cmp_ge_u32 s2, s20
	s_cbranch_scc1 .LBB22_5
; %bb.1:
	s_clause 0x2
	s_load_b32 s22, s[0:1], 0x0
	s_load_b32 s5, s[0:1], 0x7c
	s_load_b128 s[12:15], s[0:1], 0x8
	s_bfe_u32 s8, ttmp6, 0x4000c
	s_clause 0x1
	s_load_b64 s[6:7], s[0:1], 0x18
	s_load_b128 s[16:19], s[0:1], 0x28
	s_add_co_i32 s8, s8, 1
	s_and_b32 s10, ttmp6, 15
	s_mul_i32 s11, ttmp9, s8
	s_load_b64 s[8:9], s[0:1], 0x38
	s_add_co_i32 s10, s10, s11
	v_mov_b32_e32 v1, 0
	s_wait_kmcnt 0x0
	s_ashr_i32 s23, s22, 31
	s_and_b32 s5, s5, 0xffff
	s_cmp_eq_u32 s4, 0
	s_cselect_b32 s4, ttmp9, s10
	s_lshl_b64 s[14:15], s[14:15], 3
	v_mad_u32 v0, s4, s5, v0
	s_delay_alu instid0(VALU_DEP_1)
	v_mul_u64_e32 v[2:3], s[6:7], v[0:1]
	v_mul_u64_e32 v[4:5], s[8:9], v[0:1]
	s_load_b256 s[4:11], s[0:1], 0x48
	s_wait_xcnt 0x0
	s_lshl_b64 s[0:1], s[18:19], 3
	v_cmp_gt_i64_e32 vcc_lo, s[22:23], v[0:1]
	s_branch .LBB22_3
.LBB22_2:                               ;   in Loop: Header=BB22_3 Depth=1
	s_wait_xcnt 0x0
	s_or_b32 exec_lo, exec_lo, s18
	s_add_co_i32 s2, s2, 0x10000
	s_delay_alu instid0(SALU_CYCLE_1)
	s_cmp_lt_u32 s2, s20
	s_cbranch_scc0 .LBB22_5
.LBB22_3:                               ; =>This Inner Loop Header: Depth=1
	s_and_saveexec_b32 s18, vcc_lo
	s_cbranch_execz .LBB22_2
; %bb.4:                                ;   in Loop: Header=BB22_3 Depth=1
	s_load_b64 s[22:23], s[12:13], s2 offset:0x0 scale_offset
	s_load_b64 s[24:25], s[16:17], s2 offset:0x0 scale_offset
	s_wait_kmcnt 0x0
	s_mul_u64 s[26:27], s[10:11], s[2:3]
	s_delay_alu instid0(SALU_CYCLE_1) | instskip(SKIP_2) | instid1(VALU_DEP_3)
	s_lshl_b64 s[26:27], s[26:27], 3
	s_add_nc_u64 s[22:23], s[22:23], s[14:15]
	s_add_nc_u64 s[24:25], s[24:25], s[0:1]
	v_lshl_add_u64 v[6:7], v[2:3], 3, s[22:23]
	s_delay_alu instid0(VALU_DEP_3)
	v_lshl_add_u64 v[8:9], v[4:5], 3, s[24:25]
	s_add_nc_u64 s[22:23], s[8:9], s[26:27]
	global_load_b64 v[10:11], v1, s[22:23]
	flat_load_b64 v[12:13], v[6:7]
	flat_load_b64 v[14:15], v[8:9]
	s_wait_xcnt 0x2
	s_mul_u64 s[22:23], s[6:7], s[2:3]
	s_delay_alu instid0(SALU_CYCLE_1) | instskip(NEXT) | instid1(SALU_CYCLE_1)
	s_lshl_b64 s[22:23], s[22:23], 3
	s_add_nc_u64 s[22:23], s[4:5], s[22:23]
	global_load_b64 v[16:17], v1, s[22:23]
	s_wait_loadcnt_dscnt 0x201
	v_mul_f64_e32 v[18:19], v[10:11], v[12:13]
	s_wait_loadcnt_dscnt 0x100
	v_mul_f64_e32 v[10:11], v[10:11], v[14:15]
	s_wait_loadcnt 0x0
	s_delay_alu instid0(VALU_DEP_2) | instskip(NEXT) | instid1(VALU_DEP_2)
	v_fma_f64 v[14:15], v[16:17], v[14:15], -v[18:19]
	v_fmac_f64_e32 v[10:11], v[16:17], v[12:13]
	flat_store_b64 v[8:9], v[14:15]
	flat_store_b64 v[6:7], v[10:11]
	s_branch .LBB22_2
.LBB22_5:
	s_endpgm
	.section	.rodata,"a",@progbits
	.p2align	6, 0x0
	.amdhsa_kernel _ZL18rocblas_rot_kernelIiLi512EdPKPdS2_PKdS4_EviT2_lllT3_lllT4_lT5_li
		.amdhsa_group_segment_fixed_size 0
		.amdhsa_private_segment_fixed_size 0
		.amdhsa_kernarg_size 368
		.amdhsa_user_sgpr_count 2
		.amdhsa_user_sgpr_dispatch_ptr 0
		.amdhsa_user_sgpr_queue_ptr 0
		.amdhsa_user_sgpr_kernarg_segment_ptr 1
		.amdhsa_user_sgpr_dispatch_id 0
		.amdhsa_user_sgpr_kernarg_preload_length 0
		.amdhsa_user_sgpr_kernarg_preload_offset 0
		.amdhsa_user_sgpr_private_segment_size 0
		.amdhsa_wavefront_size32 1
		.amdhsa_uses_dynamic_stack 0
		.amdhsa_enable_private_segment 0
		.amdhsa_system_sgpr_workgroup_id_x 1
		.amdhsa_system_sgpr_workgroup_id_y 0
		.amdhsa_system_sgpr_workgroup_id_z 1
		.amdhsa_system_sgpr_workgroup_info 0
		.amdhsa_system_vgpr_workitem_id 0
		.amdhsa_next_free_vgpr 20
		.amdhsa_next_free_sgpr 28
		.amdhsa_named_barrier_count 0
		.amdhsa_reserve_vcc 1
		.amdhsa_float_round_mode_32 0
		.amdhsa_float_round_mode_16_64 0
		.amdhsa_float_denorm_mode_32 3
		.amdhsa_float_denorm_mode_16_64 3
		.amdhsa_fp16_overflow 0
		.amdhsa_memory_ordered 1
		.amdhsa_forward_progress 1
		.amdhsa_inst_pref_size 4
		.amdhsa_round_robin_scheduling 0
		.amdhsa_exception_fp_ieee_invalid_op 0
		.amdhsa_exception_fp_denorm_src 0
		.amdhsa_exception_fp_ieee_div_zero 0
		.amdhsa_exception_fp_ieee_overflow 0
		.amdhsa_exception_fp_ieee_underflow 0
		.amdhsa_exception_fp_ieee_inexact 0
		.amdhsa_exception_int_div_zero 0
	.end_amdhsa_kernel
	.section	.text._ZL18rocblas_rot_kernelIiLi512EdPKPdS2_PKdS4_EviT2_lllT3_lllT4_lT5_li,"axG",@progbits,_ZL18rocblas_rot_kernelIiLi512EdPKPdS2_PKdS4_EviT2_lllT3_lllT4_lT5_li,comdat
.Lfunc_end22:
	.size	_ZL18rocblas_rot_kernelIiLi512EdPKPdS2_PKdS4_EviT2_lllT3_lllT4_lT5_li, .Lfunc_end22-_ZL18rocblas_rot_kernelIiLi512EdPKPdS2_PKdS4_EviT2_lllT3_lllT4_lT5_li
                                        ; -- End function
	.set _ZL18rocblas_rot_kernelIiLi512EdPKPdS2_PKdS4_EviT2_lllT3_lllT4_lT5_li.num_vgpr, 20
	.set _ZL18rocblas_rot_kernelIiLi512EdPKPdS2_PKdS4_EviT2_lllT3_lllT4_lT5_li.num_agpr, 0
	.set _ZL18rocblas_rot_kernelIiLi512EdPKPdS2_PKdS4_EviT2_lllT3_lllT4_lT5_li.numbered_sgpr, 28
	.set _ZL18rocblas_rot_kernelIiLi512EdPKPdS2_PKdS4_EviT2_lllT3_lllT4_lT5_li.num_named_barrier, 0
	.set _ZL18rocblas_rot_kernelIiLi512EdPKPdS2_PKdS4_EviT2_lllT3_lllT4_lT5_li.private_seg_size, 0
	.set _ZL18rocblas_rot_kernelIiLi512EdPKPdS2_PKdS4_EviT2_lllT3_lllT4_lT5_li.uses_vcc, 1
	.set _ZL18rocblas_rot_kernelIiLi512EdPKPdS2_PKdS4_EviT2_lllT3_lllT4_lT5_li.uses_flat_scratch, 0
	.set _ZL18rocblas_rot_kernelIiLi512EdPKPdS2_PKdS4_EviT2_lllT3_lllT4_lT5_li.has_dyn_sized_stack, 0
	.set _ZL18rocblas_rot_kernelIiLi512EdPKPdS2_PKdS4_EviT2_lllT3_lllT4_lT5_li.has_recursion, 0
	.set _ZL18rocblas_rot_kernelIiLi512EdPKPdS2_PKdS4_EviT2_lllT3_lllT4_lT5_li.has_indirect_call, 0
	.section	.AMDGPU.csdata,"",@progbits
; Kernel info:
; codeLenInByte = 460
; TotalNumSgprs: 30
; NumVgprs: 20
; ScratchSize: 0
; MemoryBound: 0
; FloatMode: 240
; IeeeMode: 1
; LDSByteSize: 0 bytes/workgroup (compile time only)
; SGPRBlocks: 0
; VGPRBlocks: 1
; NumSGPRsForWavesPerEU: 30
; NumVGPRsForWavesPerEU: 20
; NamedBarCnt: 0
; Occupancy: 16
; WaveLimiterHint : 1
; COMPUTE_PGM_RSRC2:SCRATCH_EN: 0
; COMPUTE_PGM_RSRC2:USER_SGPR: 2
; COMPUTE_PGM_RSRC2:TRAP_HANDLER: 0
; COMPUTE_PGM_RSRC2:TGID_X_EN: 1
; COMPUTE_PGM_RSRC2:TGID_Y_EN: 0
; COMPUTE_PGM_RSRC2:TGID_Z_EN: 1
; COMPUTE_PGM_RSRC2:TIDIG_COMP_CNT: 0
	.section	.text._ZL18rocblas_rot_kernelIiLi512EdPKPdS2_ddEviT2_lllT3_lllT4_lT5_li,"axG",@progbits,_ZL18rocblas_rot_kernelIiLi512EdPKPdS2_ddEviT2_lllT3_lllT4_lT5_li,comdat
	.globl	_ZL18rocblas_rot_kernelIiLi512EdPKPdS2_ddEviT2_lllT3_lllT4_lT5_li ; -- Begin function _ZL18rocblas_rot_kernelIiLi512EdPKPdS2_ddEviT2_lllT3_lllT4_lT5_li
	.p2align	8
	.type	_ZL18rocblas_rot_kernelIiLi512EdPKPdS2_ddEviT2_lllT3_lllT4_lT5_li,@function
_ZL18rocblas_rot_kernelIiLi512EdPKPdS2_ddEviT2_lllT3_lllT4_lT5_li: ; @_ZL18rocblas_rot_kernelIiLi512EdPKPdS2_ddEviT2_lllT3_lllT4_lT5_li
; %bb.0:
	s_load_b32 s14, s[0:1], 0x68
	s_bfe_u32 s2, ttmp6, 0x40014
	s_lshr_b32 s3, ttmp7, 16
	s_add_co_i32 s2, s2, 1
	s_bfe_u32 s5, ttmp6, 0x40008
	s_mul_i32 s4, s3, s2
	s_getreg_b32 s2, hwreg(HW_REG_IB_STS2, 6, 4)
	s_add_co_i32 s5, s5, s4
	s_cmp_eq_u32 s2, 0
	s_cselect_b32 s15, s3, s5
	s_wait_kmcnt 0x0
	s_cmp_ge_u32 s15, s14
	s_cbranch_scc1 .LBB23_5
; %bb.1:
	s_clause 0x2
	s_load_b32 s16, s[0:1], 0x0
	s_load_b32 s3, s[0:1], 0x7c
	s_load_b128 s[4:7], s[0:1], 0x8
	s_bfe_u32 s8, ttmp6, 0x4000c
	s_clause 0x1
	s_load_b64 s[18:19], s[0:1], 0x18
	s_load_b64 s[20:21], s[0:1], 0x38
	s_add_co_i32 s8, s8, 1
	s_and_b32 s9, ttmp6, 15
	s_mul_i32 s8, ttmp9, s8
	v_mov_b32_e32 v5, 0
	s_add_co_i32 s9, s9, s8
	s_wait_kmcnt 0x0
	s_ashr_i32 s17, s16, 31
	s_and_b32 s3, s3, 0xffff
	s_cmp_eq_u32 s2, 0
	s_cselect_b32 s2, ttmp9, s9
	s_lshl_b64 s[6:7], s[6:7], 3
	v_mad_u32 v4, s2, s3, v0
	s_clause 0x2
	s_load_b64 s[2:3], s[0:1], 0x48
	s_load_b64 s[12:13], s[0:1], 0x58
	s_load_b128 s[8:11], s[0:1], 0x28
	s_delay_alu instid0(VALU_DEP_1)
	v_mul_u64_e32 v[0:1], s[18:19], v[4:5]
	v_mul_u64_e32 v[2:3], s[20:21], v[4:5]
	v_cmp_gt_i64_e32 vcc_lo, s[16:17], v[4:5]
	s_wait_kmcnt 0x0
	s_lshl_b64 s[0:1], s[10:11], 3
	s_branch .LBB23_3
.LBB23_2:                               ;   in Loop: Header=BB23_3 Depth=1
	s_wait_xcnt 0x0
	s_or_b32 exec_lo, exec_lo, s10
	s_add_co_i32 s15, s15, 0x10000
	s_delay_alu instid0(SALU_CYCLE_1)
	s_cmp_lt_u32 s15, s14
	s_cbranch_scc0 .LBB23_5
.LBB23_3:                               ; =>This Inner Loop Header: Depth=1
	s_and_saveexec_b32 s10, vcc_lo
	s_cbranch_execz .LBB23_2
; %bb.4:                                ;   in Loop: Header=BB23_3 Depth=1
	s_load_b64 s[16:17], s[4:5], s15 offset:0x0 scale_offset
	s_load_b64 s[18:19], s[8:9], s15 offset:0x0 scale_offset
	s_wait_kmcnt 0x0
	s_add_nc_u64 s[16:17], s[16:17], s[6:7]
	s_add_nc_u64 s[18:19], s[18:19], s[0:1]
	s_delay_alu instid0(VALU_DEP_3) | instskip(NEXT) | instid1(VALU_DEP_3)
	v_lshl_add_u64 v[4:5], v[0:1], 3, s[16:17]
	v_lshl_add_u64 v[6:7], v[2:3], 3, s[18:19]
	flat_load_b64 v[8:9], v[4:5]
	flat_load_b64 v[10:11], v[6:7]
	s_wait_loadcnt_dscnt 0x101
	v_mul_f64_e32 v[12:13], s[12:13], v[8:9]
	s_wait_loadcnt_dscnt 0x0
	v_mul_f64_e32 v[14:15], s[12:13], v[10:11]
	s_delay_alu instid0(VALU_DEP_2) | instskip(NEXT) | instid1(VALU_DEP_2)
	v_fma_f64 v[10:11], s[2:3], v[10:11], -v[12:13]
	v_fmac_f64_e32 v[14:15], s[2:3], v[8:9]
	flat_store_b64 v[6:7], v[10:11]
	flat_store_b64 v[4:5], v[14:15]
	s_branch .LBB23_2
.LBB23_5:
	s_endpgm
	.section	.rodata,"a",@progbits
	.p2align	6, 0x0
	.amdhsa_kernel _ZL18rocblas_rot_kernelIiLi512EdPKPdS2_ddEviT2_lllT3_lllT4_lT5_li
		.amdhsa_group_segment_fixed_size 0
		.amdhsa_private_segment_fixed_size 0
		.amdhsa_kernarg_size 368
		.amdhsa_user_sgpr_count 2
		.amdhsa_user_sgpr_dispatch_ptr 0
		.amdhsa_user_sgpr_queue_ptr 0
		.amdhsa_user_sgpr_kernarg_segment_ptr 1
		.amdhsa_user_sgpr_dispatch_id 0
		.amdhsa_user_sgpr_kernarg_preload_length 0
		.amdhsa_user_sgpr_kernarg_preload_offset 0
		.amdhsa_user_sgpr_private_segment_size 0
		.amdhsa_wavefront_size32 1
		.amdhsa_uses_dynamic_stack 0
		.amdhsa_enable_private_segment 0
		.amdhsa_system_sgpr_workgroup_id_x 1
		.amdhsa_system_sgpr_workgroup_id_y 0
		.amdhsa_system_sgpr_workgroup_id_z 1
		.amdhsa_system_sgpr_workgroup_info 0
		.amdhsa_system_vgpr_workitem_id 0
		.amdhsa_next_free_vgpr 16
		.amdhsa_next_free_sgpr 22
		.amdhsa_named_barrier_count 0
		.amdhsa_reserve_vcc 1
		.amdhsa_float_round_mode_32 0
		.amdhsa_float_round_mode_16_64 0
		.amdhsa_float_denorm_mode_32 3
		.amdhsa_float_denorm_mode_16_64 3
		.amdhsa_fp16_overflow 0
		.amdhsa_memory_ordered 1
		.amdhsa_forward_progress 1
		.amdhsa_inst_pref_size 4
		.amdhsa_round_robin_scheduling 0
		.amdhsa_exception_fp_ieee_invalid_op 0
		.amdhsa_exception_fp_denorm_src 0
		.amdhsa_exception_fp_ieee_div_zero 0
		.amdhsa_exception_fp_ieee_overflow 0
		.amdhsa_exception_fp_ieee_underflow 0
		.amdhsa_exception_fp_ieee_inexact 0
		.amdhsa_exception_int_div_zero 0
	.end_amdhsa_kernel
	.section	.text._ZL18rocblas_rot_kernelIiLi512EdPKPdS2_ddEviT2_lllT3_lllT4_lT5_li,"axG",@progbits,_ZL18rocblas_rot_kernelIiLi512EdPKPdS2_ddEviT2_lllT3_lllT4_lT5_li,comdat
.Lfunc_end23:
	.size	_ZL18rocblas_rot_kernelIiLi512EdPKPdS2_ddEviT2_lllT3_lllT4_lT5_li, .Lfunc_end23-_ZL18rocblas_rot_kernelIiLi512EdPKPdS2_ddEviT2_lllT3_lllT4_lT5_li
                                        ; -- End function
	.set _ZL18rocblas_rot_kernelIiLi512EdPKPdS2_ddEviT2_lllT3_lllT4_lT5_li.num_vgpr, 16
	.set _ZL18rocblas_rot_kernelIiLi512EdPKPdS2_ddEviT2_lllT3_lllT4_lT5_li.num_agpr, 0
	.set _ZL18rocblas_rot_kernelIiLi512EdPKPdS2_ddEviT2_lllT3_lllT4_lT5_li.numbered_sgpr, 22
	.set _ZL18rocblas_rot_kernelIiLi512EdPKPdS2_ddEviT2_lllT3_lllT4_lT5_li.num_named_barrier, 0
	.set _ZL18rocblas_rot_kernelIiLi512EdPKPdS2_ddEviT2_lllT3_lllT4_lT5_li.private_seg_size, 0
	.set _ZL18rocblas_rot_kernelIiLi512EdPKPdS2_ddEviT2_lllT3_lllT4_lT5_li.uses_vcc, 1
	.set _ZL18rocblas_rot_kernelIiLi512EdPKPdS2_ddEviT2_lllT3_lllT4_lT5_li.uses_flat_scratch, 0
	.set _ZL18rocblas_rot_kernelIiLi512EdPKPdS2_ddEviT2_lllT3_lllT4_lT5_li.has_dyn_sized_stack, 0
	.set _ZL18rocblas_rot_kernelIiLi512EdPKPdS2_ddEviT2_lllT3_lllT4_lT5_li.has_recursion, 0
	.set _ZL18rocblas_rot_kernelIiLi512EdPKPdS2_ddEviT2_lllT3_lllT4_lT5_li.has_indirect_call, 0
	.section	.AMDGPU.csdata,"",@progbits
; Kernel info:
; codeLenInByte = 404
; TotalNumSgprs: 24
; NumVgprs: 16
; ScratchSize: 0
; MemoryBound: 0
; FloatMode: 240
; IeeeMode: 1
; LDSByteSize: 0 bytes/workgroup (compile time only)
; SGPRBlocks: 0
; VGPRBlocks: 0
; NumSGPRsForWavesPerEU: 24
; NumVGPRsForWavesPerEU: 16
; NamedBarCnt: 0
; Occupancy: 16
; WaveLimiterHint : 1
; COMPUTE_PGM_RSRC2:SCRATCH_EN: 0
; COMPUTE_PGM_RSRC2:USER_SGPR: 2
; COMPUTE_PGM_RSRC2:TRAP_HANDLER: 0
; COMPUTE_PGM_RSRC2:TGID_X_EN: 1
; COMPUTE_PGM_RSRC2:TGID_Y_EN: 0
; COMPUTE_PGM_RSRC2:TGID_Z_EN: 1
; COMPUTE_PGM_RSRC2:TIDIG_COMP_CNT: 0
	.section	.text._ZL18rocblas_rot_kernelIiLi512EfPKP16rocblas_bfloat16S3_PKS0_S5_EviT2_lllT3_lllT4_lT5_li,"axG",@progbits,_ZL18rocblas_rot_kernelIiLi512EfPKP16rocblas_bfloat16S3_PKS0_S5_EviT2_lllT3_lllT4_lT5_li,comdat
	.globl	_ZL18rocblas_rot_kernelIiLi512EfPKP16rocblas_bfloat16S3_PKS0_S5_EviT2_lllT3_lllT4_lT5_li ; -- Begin function _ZL18rocblas_rot_kernelIiLi512EfPKP16rocblas_bfloat16S3_PKS0_S5_EviT2_lllT3_lllT4_lT5_li
	.p2align	8
	.type	_ZL18rocblas_rot_kernelIiLi512EfPKP16rocblas_bfloat16S3_PKS0_S5_EviT2_lllT3_lllT4_lT5_li,@function
_ZL18rocblas_rot_kernelIiLi512EfPKP16rocblas_bfloat16S3_PKS0_S5_EviT2_lllT3_lllT4_lT5_li: ; @_ZL18rocblas_rot_kernelIiLi512EfPKP16rocblas_bfloat16S3_PKS0_S5_EviT2_lllT3_lllT4_lT5_li
; %bb.0:
	s_load_b32 s22, s[0:1], 0x68
	s_bfe_u32 s2, ttmp6, 0x40014
	s_lshr_b32 s3, ttmp7, 16
	s_add_co_i32 s2, s2, 1
	s_bfe_u32 s5, ttmp6, 0x40008
	s_mul_i32 s2, s3, s2
	s_getreg_b32 s4, hwreg(HW_REG_IB_STS2, 6, 4)
	s_add_co_i32 s5, s5, s2
	s_cmp_eq_u32 s4, 0
	s_cselect_b32 s2, s3, s5
	s_mov_b32 s3, 0
	s_wait_kmcnt 0x0
	s_cmp_ge_u32 s2, s22
	s_cbranch_scc1 .LBB24_29
; %bb.1:
	s_clause 0x2
	s_load_b32 s20, s[0:1], 0x0
	s_load_b32 s5, s[0:1], 0x7c
	s_load_b128 s[12:15], s[0:1], 0x8
	s_bfe_u32 s8, ttmp6, 0x4000c
	s_clause 0x1
	s_load_b64 s[6:7], s[0:1], 0x18
	s_load_b128 s[16:19], s[0:1], 0x28
	s_add_co_i32 s8, s8, 1
	s_and_b32 s10, ttmp6, 15
	s_mul_i32 s11, ttmp9, s8
	s_load_b64 s[8:9], s[0:1], 0x38
	s_add_co_i32 s10, s10, s11
	v_mov_b32_e32 v1, 0
	s_wait_kmcnt 0x0
	s_ashr_i32 s21, s20, 31
	s_and_b32 s5, s5, 0xffff
	s_cmp_eq_u32 s4, 0
	s_cselect_b32 s4, ttmp9, s10
	s_lshl_b64 s[14:15], s[14:15], 1
	v_mad_u32 v0, s4, s5, v0
	s_lshl_b64 s[18:19], s[18:19], 1
	s_delay_alu instid0(VALU_DEP_1)
	v_mul_u64_e32 v[2:3], s[6:7], v[0:1]
	v_mul_u64_e32 v[4:5], s[8:9], v[0:1]
	s_load_b256 s[4:11], s[0:1], 0x48
	v_cmp_gt_i64_e32 vcc_lo, s[20:21], v[0:1]
	s_branch .LBB24_4
.LBB24_2:                               ;   in Loop: Header=BB24_4 Depth=1
	s_or_b32 exec_lo, exec_lo, s20
	flat_store_d16_hi_b16 v[6:7], v0
.LBB24_3:                               ;   in Loop: Header=BB24_4 Depth=1
	s_wait_xcnt 0x0
	s_or_b32 exec_lo, exec_lo, s1
	s_add_co_i32 s2, s2, 0x10000
	s_delay_alu instid0(SALU_CYCLE_1)
	s_cmp_lt_u32 s2, s22
	s_cbranch_scc0 .LBB24_29
.LBB24_4:                               ; =>This Inner Loop Header: Depth=1
	s_wait_xcnt 0x0
	s_and_saveexec_b32 s1, vcc_lo
	s_cbranch_execz .LBB24_3
; %bb.5:                                ;   in Loop: Header=BB24_4 Depth=1
	s_lshl_b64 s[20:21], s[2:3], 3
                                        ; implicit-def: $vgpr15
	s_delay_alu instid0(SALU_CYCLE_1)
	s_add_nc_u64 s[24:25], s[12:13], s[20:21]
	s_load_b64 s[24:25], s[24:25], 0x0
	s_wait_kmcnt 0x0
	s_wait_xcnt 0x0
	s_add_nc_u64 s[24:25], s[24:25], s[14:15]
	s_delay_alu instid0(VALU_DEP_3) | instid1(SALU_CYCLE_1)
	v_lshl_add_u64 v[6:7], v[2:3], 1, s[24:25]
	s_mul_u64 s[24:25], s[6:7], s[2:3]
	s_delay_alu instid0(SALU_CYCLE_1) | instskip(NEXT) | instid1(SALU_CYCLE_1)
	s_lshl_b64 s[24:25], s[24:25], 1
	s_add_nc_u64 s[24:25], s[4:5], s[24:25]
	flat_load_u16 v0, v[6:7]
	global_load_u16 v8, v1, s[24:25]
	s_wait_xcnt 0x0
	s_mul_u64 s[24:25], s[10:11], s[2:3]
	s_delay_alu instid0(SALU_CYCLE_1) | instskip(NEXT) | instid1(SALU_CYCLE_1)
	s_lshl_b64 s[24:25], s[24:25], 1
	s_add_nc_u64 s[24:25], s[8:9], s[24:25]
	global_load_u16 v12, v1, s[24:25]
	s_wait_loadcnt_dscnt 0x200
	v_lshlrev_b32_e32 v11, 16, v0
	s_wait_loadcnt 0x1
	s_delay_alu instid0(VALU_DEP_1) | instskip(NEXT) | instid1(VALU_DEP_1)
	v_dual_lshlrev_b32 v10, 16, v8 :: v_dual_mov_b32 v0, v11
	v_pk_mul_f32 v[8:9], v[0:1], v[10:11]
	s_delay_alu instid0(VALU_DEP_1) | instskip(NEXT) | instid1(VALU_DEP_1)
	v_and_b32_e32 v9, 0x7f800000, v8
	v_cmp_ne_u32_e64 s0, 0x7f800000, v9
	s_wait_xcnt 0x0
	s_and_saveexec_b32 s23, s0
	s_delay_alu instid0(SALU_CYCLE_1)
	s_xor_b32 s0, exec_lo, s23
; %bb.6:                                ;   in Loop: Header=BB24_4 Depth=1
	v_bfe_u32 v9, v8, 16, 1
	s_delay_alu instid0(VALU_DEP_1)
	v_add3_u32 v15, v8, v9, 0x7fff
                                        ; implicit-def: $vgpr8_vgpr9
; %bb.7:                                ;   in Loop: Header=BB24_4 Depth=1
	s_or_saveexec_b32 s23, s0
	s_add_nc_u64 s[20:21], s[16:17], s[20:21]
	s_load_b64 s[20:21], s[20:21], 0x0
	s_xor_b32 exec_lo, exec_lo, s23
; %bb.8:                                ;   in Loop: Header=BB24_4 Depth=1
	v_and_b32_e32 v9, 0xffff, v8
	v_or_b32_e32 v13, 0x10000, v8
	s_delay_alu instid0(VALU_DEP_2) | instskip(NEXT) | instid1(VALU_DEP_1)
	v_cmp_eq_u32_e64 s0, 0, v9
	v_cndmask_b32_e64 v15, v13, v8, s0
; %bb.9:                                ;   in Loop: Header=BB24_4 Depth=1
	s_or_b32 exec_lo, exec_lo, s23
	s_wait_kmcnt 0x0
	s_wait_xcnt 0x0
	s_add_nc_u64 s[20:21], s[20:21], s[18:19]
                                        ; implicit-def: $vgpr18
	s_wait_loadcnt 0x0
	v_lshlrev_b32_e32 v12, 16, v12
	v_lshl_add_u64 v[8:9], v[4:5], 1, s[20:21]
	flat_load_u16 v13, v[8:9]
	s_wait_loadcnt_dscnt 0x0
	v_lshlrev_b32_e32 v13, 16, v13
	s_delay_alu instid0(VALU_DEP_1) | instskip(NEXT) | instid1(VALU_DEP_1)
	v_mov_b32_e32 v14, v13
	v_pk_mul_f32 v[16:17], v[14:15], v[12:13]
	s_delay_alu instid0(VALU_DEP_1) | instskip(NEXT) | instid1(VALU_DEP_1)
	v_and_b32_e32 v17, 0x7f800000, v16
	v_cmp_ne_u32_e64 s0, 0x7f800000, v17
	s_wait_xcnt 0x0
	s_and_saveexec_b32 s20, s0
	s_delay_alu instid0(SALU_CYCLE_1)
	s_xor_b32 s0, exec_lo, s20
; %bb.10:                               ;   in Loop: Header=BB24_4 Depth=1
	v_bfe_u32 v17, v16, 16, 1
	s_delay_alu instid0(VALU_DEP_1)
	v_add3_u32 v18, v16, v17, 0x7fff
                                        ; implicit-def: $vgpr16_vgpr17
; %bb.11:                               ;   in Loop: Header=BB24_4 Depth=1
	s_and_not1_saveexec_b32 s20, s0
; %bb.12:                               ;   in Loop: Header=BB24_4 Depth=1
	v_and_b32_e32 v17, 0xffff, v16
	v_or_b32_e32 v18, 0x10000, v16
	s_delay_alu instid0(VALU_DEP_2) | instskip(NEXT) | instid1(VALU_DEP_1)
	v_cmp_eq_u32_e64 s0, 0, v17
	v_cndmask_b32_e64 v18, v18, v16, s0
; %bb.13:                               ;   in Loop: Header=BB24_4 Depth=1
	s_or_b32 exec_lo, exec_lo, s20
	v_pk_mul_f32 v[10:11], v[14:15], v[10:11]
                                        ; implicit-def: $vgpr14
	s_delay_alu instid0(VALU_DEP_1) | instskip(NEXT) | instid1(VALU_DEP_1)
	v_and_b32_e32 v11, 0x7f800000, v10
	v_cmp_ne_u32_e64 s0, 0x7f800000, v11
	s_and_saveexec_b32 s20, s0
	s_delay_alu instid0(SALU_CYCLE_1)
	s_xor_b32 s0, exec_lo, s20
; %bb.14:                               ;   in Loop: Header=BB24_4 Depth=1
	v_bfe_u32 v11, v10, 16, 1
	s_delay_alu instid0(VALU_DEP_1)
	v_add3_u32 v14, v10, v11, 0x7fff
                                        ; implicit-def: $vgpr10_vgpr11
; %bb.15:                               ;   in Loop: Header=BB24_4 Depth=1
	s_and_not1_saveexec_b32 s20, s0
; %bb.16:                               ;   in Loop: Header=BB24_4 Depth=1
	v_and_b32_e32 v11, 0xffff, v10
	v_or_b32_e32 v14, 0x10000, v10
	s_delay_alu instid0(VALU_DEP_2) | instskip(NEXT) | instid1(VALU_DEP_1)
	v_cmp_eq_u32_e64 s0, 0, v11
	v_cndmask_b32_e64 v14, v14, v10, s0
; %bb.17:                               ;   in Loop: Header=BB24_4 Depth=1
	s_or_b32 exec_lo, exec_lo, s20
	v_pk_mul_f32 v[10:11], v[0:1], v[12:13]
	s_delay_alu instid0(VALU_DEP_1) | instskip(NEXT) | instid1(VALU_DEP_1)
	v_and_b32_e32 v0, 0x7f800000, v10
	v_cmp_ne_u32_e64 s0, 0x7f800000, v0
                                        ; implicit-def: $vgpr0
	s_and_saveexec_b32 s20, s0
	s_delay_alu instid0(SALU_CYCLE_1)
	s_xor_b32 s0, exec_lo, s20
; %bb.18:                               ;   in Loop: Header=BB24_4 Depth=1
	v_bfe_u32 v0, v10, 16, 1
	s_delay_alu instid0(VALU_DEP_1)
	v_add3_u32 v0, v10, v0, 0x7fff
                                        ; implicit-def: $vgpr10_vgpr11
; %bb.19:                               ;   in Loop: Header=BB24_4 Depth=1
	s_and_not1_saveexec_b32 s20, s0
; %bb.20:                               ;   in Loop: Header=BB24_4 Depth=1
	v_and_b32_e32 v0, 0xffff, v10
	v_or_b32_e32 v11, 0x10000, v10
	s_delay_alu instid0(VALU_DEP_2) | instskip(NEXT) | instid1(VALU_DEP_1)
	v_cmp_eq_u32_e64 s0, 0, v0
	v_cndmask_b32_e64 v0, v11, v10, s0
; %bb.21:                               ;   in Loop: Header=BB24_4 Depth=1
	s_or_b32 exec_lo, exec_lo, s20
	v_and_b32_e32 v10, 0xffff0000, v14
	s_delay_alu instid0(VALU_DEP_2) | instskip(NEXT) | instid1(VALU_DEP_1)
	v_and_b32_e32 v0, 0xffff0000, v0
	v_sub_f32_e32 v10, v10, v0
	s_delay_alu instid0(VALU_DEP_1) | instskip(NEXT) | instid1(VALU_DEP_1)
	v_and_b32_e32 v0, 0x7f800000, v10
	v_cmp_ne_u32_e64 s0, 0x7f800000, v0
                                        ; implicit-def: $vgpr0
	s_and_saveexec_b32 s20, s0
	s_delay_alu instid0(SALU_CYCLE_1)
	s_xor_b32 s0, exec_lo, s20
; %bb.22:                               ;   in Loop: Header=BB24_4 Depth=1
	v_bfe_u32 v0, v10, 16, 1
	s_delay_alu instid0(VALU_DEP_1)
	v_add3_u32 v0, v10, v0, 0x7fff
                                        ; implicit-def: $vgpr10
; %bb.23:                               ;   in Loop: Header=BB24_4 Depth=1
	s_and_not1_saveexec_b32 s20, s0
; %bb.24:                               ;   in Loop: Header=BB24_4 Depth=1
	v_and_b32_e32 v0, 0xffff, v10
	v_or_b32_e32 v11, 0x10000, v10
	s_delay_alu instid0(VALU_DEP_2) | instskip(NEXT) | instid1(VALU_DEP_1)
	v_cmp_eq_u32_e64 s0, 0, v0
	v_cndmask_b32_e64 v0, v11, v10, s0
; %bb.25:                               ;   in Loop: Header=BB24_4 Depth=1
	s_or_b32 exec_lo, exec_lo, s20
	v_and_b32_e32 v10, 0xffff0000, v15
	v_and_b32_e32 v11, 0xffff0000, v18
	flat_store_d16_hi_b16 v[8:9], v0
                                        ; implicit-def: $vgpr0
	v_add_f32_e32 v10, v10, v11
	s_delay_alu instid0(VALU_DEP_1) | instskip(NEXT) | instid1(VALU_DEP_1)
	v_and_b32_e32 v11, 0x7f800000, v10
	v_cmp_ne_u32_e64 s0, 0x7f800000, v11
	s_wait_xcnt 0x0
	s_and_saveexec_b32 s20, s0
	s_delay_alu instid0(SALU_CYCLE_1)
	s_xor_b32 s0, exec_lo, s20
; %bb.26:                               ;   in Loop: Header=BB24_4 Depth=1
	v_bfe_u32 v0, v10, 16, 1
	s_delay_alu instid0(VALU_DEP_1)
	v_add3_u32 v0, v10, v0, 0x7fff
                                        ; implicit-def: $vgpr10
; %bb.27:                               ;   in Loop: Header=BB24_4 Depth=1
	s_and_not1_saveexec_b32 s20, s0
	s_cbranch_execz .LBB24_2
; %bb.28:                               ;   in Loop: Header=BB24_4 Depth=1
	v_and_b32_e32 v0, 0xffff, v10
	v_or_b32_e32 v8, 0x10000, v10
	s_delay_alu instid0(VALU_DEP_2) | instskip(NEXT) | instid1(VALU_DEP_1)
	v_cmp_eq_u32_e64 s0, 0, v0
	v_cndmask_b32_e64 v0, v8, v10, s0
	s_branch .LBB24_2
.LBB24_29:
	s_endpgm
	.section	.rodata,"a",@progbits
	.p2align	6, 0x0
	.amdhsa_kernel _ZL18rocblas_rot_kernelIiLi512EfPKP16rocblas_bfloat16S3_PKS0_S5_EviT2_lllT3_lllT4_lT5_li
		.amdhsa_group_segment_fixed_size 0
		.amdhsa_private_segment_fixed_size 0
		.amdhsa_kernarg_size 368
		.amdhsa_user_sgpr_count 2
		.amdhsa_user_sgpr_dispatch_ptr 0
		.amdhsa_user_sgpr_queue_ptr 0
		.amdhsa_user_sgpr_kernarg_segment_ptr 1
		.amdhsa_user_sgpr_dispatch_id 0
		.amdhsa_user_sgpr_kernarg_preload_length 0
		.amdhsa_user_sgpr_kernarg_preload_offset 0
		.amdhsa_user_sgpr_private_segment_size 0
		.amdhsa_wavefront_size32 1
		.amdhsa_uses_dynamic_stack 0
		.amdhsa_enable_private_segment 0
		.amdhsa_system_sgpr_workgroup_id_x 1
		.amdhsa_system_sgpr_workgroup_id_y 0
		.amdhsa_system_sgpr_workgroup_id_z 1
		.amdhsa_system_sgpr_workgroup_info 0
		.amdhsa_system_vgpr_workitem_id 0
		.amdhsa_next_free_vgpr 19
		.amdhsa_next_free_sgpr 26
		.amdhsa_named_barrier_count 0
		.amdhsa_reserve_vcc 1
		.amdhsa_float_round_mode_32 0
		.amdhsa_float_round_mode_16_64 0
		.amdhsa_float_denorm_mode_32 3
		.amdhsa_float_denorm_mode_16_64 3
		.amdhsa_fp16_overflow 0
		.amdhsa_memory_ordered 1
		.amdhsa_forward_progress 1
		.amdhsa_inst_pref_size 10
		.amdhsa_round_robin_scheduling 0
		.amdhsa_exception_fp_ieee_invalid_op 0
		.amdhsa_exception_fp_denorm_src 0
		.amdhsa_exception_fp_ieee_div_zero 0
		.amdhsa_exception_fp_ieee_overflow 0
		.amdhsa_exception_fp_ieee_underflow 0
		.amdhsa_exception_fp_ieee_inexact 0
		.amdhsa_exception_int_div_zero 0
	.end_amdhsa_kernel
	.section	.text._ZL18rocblas_rot_kernelIiLi512EfPKP16rocblas_bfloat16S3_PKS0_S5_EviT2_lllT3_lllT4_lT5_li,"axG",@progbits,_ZL18rocblas_rot_kernelIiLi512EfPKP16rocblas_bfloat16S3_PKS0_S5_EviT2_lllT3_lllT4_lT5_li,comdat
.Lfunc_end24:
	.size	_ZL18rocblas_rot_kernelIiLi512EfPKP16rocblas_bfloat16S3_PKS0_S5_EviT2_lllT3_lllT4_lT5_li, .Lfunc_end24-_ZL18rocblas_rot_kernelIiLi512EfPKP16rocblas_bfloat16S3_PKS0_S5_EviT2_lllT3_lllT4_lT5_li
                                        ; -- End function
	.set _ZL18rocblas_rot_kernelIiLi512EfPKP16rocblas_bfloat16S3_PKS0_S5_EviT2_lllT3_lllT4_lT5_li.num_vgpr, 19
	.set _ZL18rocblas_rot_kernelIiLi512EfPKP16rocblas_bfloat16S3_PKS0_S5_EviT2_lllT3_lllT4_lT5_li.num_agpr, 0
	.set _ZL18rocblas_rot_kernelIiLi512EfPKP16rocblas_bfloat16S3_PKS0_S5_EviT2_lllT3_lllT4_lT5_li.numbered_sgpr, 26
	.set _ZL18rocblas_rot_kernelIiLi512EfPKP16rocblas_bfloat16S3_PKS0_S5_EviT2_lllT3_lllT4_lT5_li.num_named_barrier, 0
	.set _ZL18rocblas_rot_kernelIiLi512EfPKP16rocblas_bfloat16S3_PKS0_S5_EviT2_lllT3_lllT4_lT5_li.private_seg_size, 0
	.set _ZL18rocblas_rot_kernelIiLi512EfPKP16rocblas_bfloat16S3_PKS0_S5_EviT2_lllT3_lllT4_lT5_li.uses_vcc, 1
	.set _ZL18rocblas_rot_kernelIiLi512EfPKP16rocblas_bfloat16S3_PKS0_S5_EviT2_lllT3_lllT4_lT5_li.uses_flat_scratch, 0
	.set _ZL18rocblas_rot_kernelIiLi512EfPKP16rocblas_bfloat16S3_PKS0_S5_EviT2_lllT3_lllT4_lT5_li.has_dyn_sized_stack, 0
	.set _ZL18rocblas_rot_kernelIiLi512EfPKP16rocblas_bfloat16S3_PKS0_S5_EviT2_lllT3_lllT4_lT5_li.has_recursion, 0
	.set _ZL18rocblas_rot_kernelIiLi512EfPKP16rocblas_bfloat16S3_PKS0_S5_EviT2_lllT3_lllT4_lT5_li.has_indirect_call, 0
	.section	.AMDGPU.csdata,"",@progbits
; Kernel info:
; codeLenInByte = 1224
; TotalNumSgprs: 28
; NumVgprs: 19
; ScratchSize: 0
; MemoryBound: 0
; FloatMode: 240
; IeeeMode: 1
; LDSByteSize: 0 bytes/workgroup (compile time only)
; SGPRBlocks: 0
; VGPRBlocks: 1
; NumSGPRsForWavesPerEU: 28
; NumVGPRsForWavesPerEU: 19
; NamedBarCnt: 0
; Occupancy: 16
; WaveLimiterHint : 1
; COMPUTE_PGM_RSRC2:SCRATCH_EN: 0
; COMPUTE_PGM_RSRC2:USER_SGPR: 2
; COMPUTE_PGM_RSRC2:TRAP_HANDLER: 0
; COMPUTE_PGM_RSRC2:TGID_X_EN: 1
; COMPUTE_PGM_RSRC2:TGID_Y_EN: 0
; COMPUTE_PGM_RSRC2:TGID_Z_EN: 1
; COMPUTE_PGM_RSRC2:TIDIG_COMP_CNT: 0
	.section	.text._ZL18rocblas_rot_kernelIiLi512EfPKP16rocblas_bfloat16S3_S0_S0_EviT2_lllT3_lllT4_lT5_li,"axG",@progbits,_ZL18rocblas_rot_kernelIiLi512EfPKP16rocblas_bfloat16S3_S0_S0_EviT2_lllT3_lllT4_lT5_li,comdat
	.globl	_ZL18rocblas_rot_kernelIiLi512EfPKP16rocblas_bfloat16S3_S0_S0_EviT2_lllT3_lllT4_lT5_li ; -- Begin function _ZL18rocblas_rot_kernelIiLi512EfPKP16rocblas_bfloat16S3_S0_S0_EviT2_lllT3_lllT4_lT5_li
	.p2align	8
	.type	_ZL18rocblas_rot_kernelIiLi512EfPKP16rocblas_bfloat16S3_S0_S0_EviT2_lllT3_lllT4_lT5_li,@function
_ZL18rocblas_rot_kernelIiLi512EfPKP16rocblas_bfloat16S3_S0_S0_EviT2_lllT3_lllT4_lT5_li: ; @_ZL18rocblas_rot_kernelIiLi512EfPKP16rocblas_bfloat16S3_S0_S0_EviT2_lllT3_lllT4_lT5_li
; %bb.0:
	s_load_b32 s14, s[0:1], 0x68
	s_bfe_u32 s2, ttmp6, 0x40014
	s_lshr_b32 s3, ttmp7, 16
	s_add_co_i32 s2, s2, 1
	s_bfe_u32 s4, ttmp6, 0x40008
	s_mul_i32 s2, s3, s2
	s_getreg_b32 s8, hwreg(HW_REG_IB_STS2, 6, 4)
	s_add_co_i32 s4, s4, s2
	s_cmp_eq_u32 s8, 0
	s_cselect_b32 s2, s3, s4
	s_mov_b32 s3, 0
	s_wait_kmcnt 0x0
	s_cmp_ge_u32 s2, s14
	s_cbranch_scc1 .LBB25_29
; %bb.1:
	s_clause 0x2
	s_load_b32 s12, s[0:1], 0x0
	s_load_b32 s9, s[0:1], 0x7c
	s_load_b128 s[4:7], s[0:1], 0x8
	s_bfe_u32 s10, ttmp6, 0x4000c
	s_clause 0x1
	s_load_b64 s[16:17], s[0:1], 0x18
	s_load_b64 s[18:19], s[0:1], 0x38
	s_add_co_i32 s10, s10, 1
	s_and_b32 s11, ttmp6, 15
	s_mul_i32 s10, ttmp9, s10
	v_mov_b32_e32 v5, 0
	s_add_co_i32 s11, s11, s10
	s_wait_kmcnt 0x0
	s_ashr_i32 s13, s12, 31
	s_and_b32 s9, s9, 0xffff
	s_cmp_eq_u32 s8, 0
	s_cselect_b32 s8, ttmp9, s11
	s_lshl_b64 s[6:7], s[6:7], 1
	v_mad_u32 v4, s8, s9, v0
	s_clause 0x2
	s_load_b32 s15, s[0:1], 0x48
	s_load_b32 s20, s[0:1], 0x58
	s_load_b128 s[8:11], s[0:1], 0x28
	s_delay_alu instid0(VALU_DEP_1)
	v_mul_u64_e32 v[0:1], s[16:17], v[4:5]
	v_mul_u64_e32 v[2:3], s[18:19], v[4:5]
	v_cmp_gt_i64_e32 vcc_lo, s[12:13], v[4:5]
	s_wait_kmcnt 0x0
	s_lshl_b32 s1, s15, 16
	s_lshl_b32 s15, s20, 16
	s_lshl_b64 s[10:11], s[10:11], 1
	s_branch .LBB25_4
.LBB25_2:                               ;   in Loop: Header=BB25_4 Depth=1
	s_or_b32 exec_lo, exec_lo, s12
	flat_store_d16_hi_b16 v[4:5], v6
.LBB25_3:                               ;   in Loop: Header=BB25_4 Depth=1
	s_wait_xcnt 0x0
	s_or_b32 exec_lo, exec_lo, s16
	s_add_co_i32 s2, s2, 0x10000
	s_delay_alu instid0(SALU_CYCLE_1)
	s_cmp_lt_u32 s2, s14
	s_cbranch_scc0 .LBB25_29
.LBB25_4:                               ; =>This Inner Loop Header: Depth=1
	s_and_saveexec_b32 s16, vcc_lo
	s_cbranch_execz .LBB25_3
; %bb.5:                                ;   in Loop: Header=BB25_4 Depth=1
	s_lshl_b64 s[12:13], s[2:3], 3
                                        ; implicit-def: $vgpr8
	s_delay_alu instid0(SALU_CYCLE_1)
	s_add_nc_u64 s[18:19], s[4:5], s[12:13]
	s_load_b64 s[18:19], s[18:19], 0x0
	s_wait_kmcnt 0x0
	s_wait_xcnt 0x0
	s_add_nc_u64 s[18:19], s[18:19], s[6:7]
	s_delay_alu instid0(VALU_DEP_3) | instid1(SALU_CYCLE_1)
	v_lshl_add_u64 v[4:5], v[0:1], 1, s[18:19]
	flat_load_u16 v6, v[4:5]
	s_wait_loadcnt_dscnt 0x0
	v_lshlrev_b32_e32 v10, 16, v6
	s_delay_alu instid0(VALU_DEP_1) | instskip(NEXT) | instid1(VALU_DEP_1)
	v_mul_f32_e32 v6, s1, v10
	v_and_b32_e32 v7, 0x7f800000, v6
	s_delay_alu instid0(VALU_DEP_1) | instskip(SKIP_2) | instid1(SALU_CYCLE_1)
	v_cmp_ne_u32_e64 s0, 0x7f800000, v7
	s_wait_xcnt 0x0
	s_and_saveexec_b32 s17, s0
	s_xor_b32 s0, exec_lo, s17
; %bb.6:                                ;   in Loop: Header=BB25_4 Depth=1
	v_bfe_u32 v7, v6, 16, 1
	s_delay_alu instid0(VALU_DEP_1)
	v_add3_u32 v8, v6, v7, 0x7fff
                                        ; implicit-def: $vgpr6
; %bb.7:                                ;   in Loop: Header=BB25_4 Depth=1
	s_or_saveexec_b32 s17, s0
	s_add_nc_u64 s[12:13], s[8:9], s[12:13]
	s_load_b64 s[12:13], s[12:13], 0x0
	s_xor_b32 exec_lo, exec_lo, s17
; %bb.8:                                ;   in Loop: Header=BB25_4 Depth=1
	v_and_b32_e32 v7, 0xffff, v6
	v_or_b32_e32 v8, 0x10000, v6
	s_delay_alu instid0(VALU_DEP_2) | instskip(NEXT) | instid1(VALU_DEP_1)
	v_cmp_eq_u32_e64 s0, 0, v7
	v_cndmask_b32_e64 v8, v8, v6, s0
; %bb.9:                                ;   in Loop: Header=BB25_4 Depth=1
	s_or_b32 exec_lo, exec_lo, s17
	s_wait_kmcnt 0x0
	s_wait_xcnt 0x0
	s_add_nc_u64 s[12:13], s[12:13], s[10:11]
	s_delay_alu instid0(SALU_CYCLE_1) | instskip(SKIP_3) | instid1(VALU_DEP_1)
	v_lshl_add_u64 v[6:7], v[2:3], 1, s[12:13]
	flat_load_u16 v9, v[6:7]
	s_wait_loadcnt_dscnt 0x0
	v_lshlrev_b32_e32 v11, 16, v9
	v_mul_f32_e32 v12, s15, v11
	s_delay_alu instid0(VALU_DEP_1) | instskip(NEXT) | instid1(VALU_DEP_1)
	v_and_b32_e32 v9, 0x7f800000, v12
	v_cmp_ne_u32_e64 s0, 0x7f800000, v9
                                        ; implicit-def: $vgpr9
	s_wait_xcnt 0x0
	s_and_saveexec_b32 s12, s0
	s_delay_alu instid0(SALU_CYCLE_1)
	s_xor_b32 s0, exec_lo, s12
; %bb.10:                               ;   in Loop: Header=BB25_4 Depth=1
	v_bfe_u32 v9, v12, 16, 1
	s_delay_alu instid0(VALU_DEP_1)
	v_add3_u32 v9, v12, v9, 0x7fff
                                        ; implicit-def: $vgpr12
; %bb.11:                               ;   in Loop: Header=BB25_4 Depth=1
	s_and_not1_saveexec_b32 s12, s0
; %bb.12:                               ;   in Loop: Header=BB25_4 Depth=1
	v_and_b32_e32 v9, 0xffff, v12
	v_or_b32_e32 v13, 0x10000, v12
	s_delay_alu instid0(VALU_DEP_2) | instskip(NEXT) | instid1(VALU_DEP_1)
	v_cmp_eq_u32_e64 s0, 0, v9
	v_cndmask_b32_e64 v9, v13, v12, s0
; %bb.13:                               ;   in Loop: Header=BB25_4 Depth=1
	s_or_b32 exec_lo, exec_lo, s12
	v_mul_f32_e32 v12, s1, v11
	s_delay_alu instid0(VALU_DEP_1) | instskip(NEXT) | instid1(VALU_DEP_1)
	v_and_b32_e32 v11, 0x7f800000, v12
	v_cmp_ne_u32_e64 s0, 0x7f800000, v11
                                        ; implicit-def: $vgpr11
	s_and_saveexec_b32 s12, s0
	s_delay_alu instid0(SALU_CYCLE_1)
	s_xor_b32 s0, exec_lo, s12
; %bb.14:                               ;   in Loop: Header=BB25_4 Depth=1
	v_bfe_u32 v11, v12, 16, 1
	s_delay_alu instid0(VALU_DEP_1)
	v_add3_u32 v11, v12, v11, 0x7fff
                                        ; implicit-def: $vgpr12
; %bb.15:                               ;   in Loop: Header=BB25_4 Depth=1
	s_and_not1_saveexec_b32 s12, s0
; %bb.16:                               ;   in Loop: Header=BB25_4 Depth=1
	v_and_b32_e32 v11, 0xffff, v12
	v_or_b32_e32 v13, 0x10000, v12
	s_delay_alu instid0(VALU_DEP_2) | instskip(NEXT) | instid1(VALU_DEP_1)
	v_cmp_eq_u32_e64 s0, 0, v11
	v_cndmask_b32_e64 v11, v13, v12, s0
; %bb.17:                               ;   in Loop: Header=BB25_4 Depth=1
	s_or_b32 exec_lo, exec_lo, s12
	v_mul_f32_e32 v10, s15, v10
	s_delay_alu instid0(VALU_DEP_1) | instskip(NEXT) | instid1(VALU_DEP_1)
	v_and_b32_e32 v12, 0x7f800000, v10
	v_cmp_ne_u32_e64 s0, 0x7f800000, v12
                                        ; implicit-def: $vgpr12
	s_and_saveexec_b32 s12, s0
	s_delay_alu instid0(SALU_CYCLE_1)
	s_xor_b32 s0, exec_lo, s12
; %bb.18:                               ;   in Loop: Header=BB25_4 Depth=1
	v_bfe_u32 v12, v10, 16, 1
	s_delay_alu instid0(VALU_DEP_1)
	v_add3_u32 v12, v10, v12, 0x7fff
                                        ; implicit-def: $vgpr10
; %bb.19:                               ;   in Loop: Header=BB25_4 Depth=1
	s_and_not1_saveexec_b32 s12, s0
; %bb.20:                               ;   in Loop: Header=BB25_4 Depth=1
	v_and_b32_e32 v12, 0xffff, v10
	v_or_b32_e32 v13, 0x10000, v10
	s_delay_alu instid0(VALU_DEP_2) | instskip(NEXT) | instid1(VALU_DEP_1)
	v_cmp_eq_u32_e64 s0, 0, v12
	v_cndmask_b32_e64 v12, v13, v10, s0
; %bb.21:                               ;   in Loop: Header=BB25_4 Depth=1
	s_or_b32 exec_lo, exec_lo, s12
	v_and_b32_e32 v10, 0xffff0000, v11
	s_delay_alu instid0(VALU_DEP_2) | instskip(NEXT) | instid1(VALU_DEP_1)
	v_and_b32_e32 v11, 0xffff0000, v12
	v_sub_f32_e32 v11, v10, v11
	s_delay_alu instid0(VALU_DEP_1) | instskip(NEXT) | instid1(VALU_DEP_1)
	v_and_b32_e32 v10, 0x7f800000, v11
	v_cmp_ne_u32_e64 s0, 0x7f800000, v10
                                        ; implicit-def: $vgpr10
	s_and_saveexec_b32 s12, s0
	s_delay_alu instid0(SALU_CYCLE_1)
	s_xor_b32 s0, exec_lo, s12
; %bb.22:                               ;   in Loop: Header=BB25_4 Depth=1
	v_bfe_u32 v10, v11, 16, 1
	s_delay_alu instid0(VALU_DEP_1)
	v_add3_u32 v10, v11, v10, 0x7fff
                                        ; implicit-def: $vgpr11
; %bb.23:                               ;   in Loop: Header=BB25_4 Depth=1
	s_and_not1_saveexec_b32 s12, s0
; %bb.24:                               ;   in Loop: Header=BB25_4 Depth=1
	v_and_b32_e32 v10, 0xffff, v11
	v_or_b32_e32 v12, 0x10000, v11
	s_delay_alu instid0(VALU_DEP_2) | instskip(NEXT) | instid1(VALU_DEP_1)
	v_cmp_eq_u32_e64 s0, 0, v10
	v_cndmask_b32_e64 v10, v12, v11, s0
; %bb.25:                               ;   in Loop: Header=BB25_4 Depth=1
	s_or_b32 exec_lo, exec_lo, s12
	v_and_b32_e32 v8, 0xffff0000, v8
	v_and_b32_e32 v9, 0xffff0000, v9
	flat_store_d16_hi_b16 v[6:7], v10
                                        ; implicit-def: $vgpr6
	v_add_f32_e32 v8, v8, v9
	s_delay_alu instid0(VALU_DEP_1) | instskip(NEXT) | instid1(VALU_DEP_1)
	v_and_b32_e32 v9, 0x7f800000, v8
	v_cmp_ne_u32_e64 s0, 0x7f800000, v9
	s_wait_xcnt 0x0
	s_and_saveexec_b32 s12, s0
	s_delay_alu instid0(SALU_CYCLE_1)
	s_xor_b32 s0, exec_lo, s12
; %bb.26:                               ;   in Loop: Header=BB25_4 Depth=1
	v_bfe_u32 v6, v8, 16, 1
	s_delay_alu instid0(VALU_DEP_1)
	v_add3_u32 v6, v8, v6, 0x7fff
                                        ; implicit-def: $vgpr8
; %bb.27:                               ;   in Loop: Header=BB25_4 Depth=1
	s_and_not1_saveexec_b32 s12, s0
	s_cbranch_execz .LBB25_2
; %bb.28:                               ;   in Loop: Header=BB25_4 Depth=1
	v_and_b32_e32 v6, 0xffff, v8
	v_or_b32_e32 v7, 0x10000, v8
	s_delay_alu instid0(VALU_DEP_2) | instskip(NEXT) | instid1(VALU_DEP_1)
	v_cmp_eq_u32_e64 s0, 0, v6
	v_cndmask_b32_e64 v6, v7, v8, s0
	s_branch .LBB25_2
.LBB25_29:
	s_endpgm
	.section	.rodata,"a",@progbits
	.p2align	6, 0x0
	.amdhsa_kernel _ZL18rocblas_rot_kernelIiLi512EfPKP16rocblas_bfloat16S3_S0_S0_EviT2_lllT3_lllT4_lT5_li
		.amdhsa_group_segment_fixed_size 0
		.amdhsa_private_segment_fixed_size 0
		.amdhsa_kernarg_size 368
		.amdhsa_user_sgpr_count 2
		.amdhsa_user_sgpr_dispatch_ptr 0
		.amdhsa_user_sgpr_queue_ptr 0
		.amdhsa_user_sgpr_kernarg_segment_ptr 1
		.amdhsa_user_sgpr_dispatch_id 0
		.amdhsa_user_sgpr_kernarg_preload_length 0
		.amdhsa_user_sgpr_kernarg_preload_offset 0
		.amdhsa_user_sgpr_private_segment_size 0
		.amdhsa_wavefront_size32 1
		.amdhsa_uses_dynamic_stack 0
		.amdhsa_enable_private_segment 0
		.amdhsa_system_sgpr_workgroup_id_x 1
		.amdhsa_system_sgpr_workgroup_id_y 0
		.amdhsa_system_sgpr_workgroup_id_z 1
		.amdhsa_system_sgpr_workgroup_info 0
		.amdhsa_system_vgpr_workitem_id 0
		.amdhsa_next_free_vgpr 14
		.amdhsa_next_free_sgpr 21
		.amdhsa_named_barrier_count 0
		.amdhsa_reserve_vcc 1
		.amdhsa_float_round_mode_32 0
		.amdhsa_float_round_mode_16_64 0
		.amdhsa_float_denorm_mode_32 3
		.amdhsa_float_denorm_mode_16_64 3
		.amdhsa_fp16_overflow 0
		.amdhsa_memory_ordered 1
		.amdhsa_forward_progress 1
		.amdhsa_inst_pref_size 9
		.amdhsa_round_robin_scheduling 0
		.amdhsa_exception_fp_ieee_invalid_op 0
		.amdhsa_exception_fp_denorm_src 0
		.amdhsa_exception_fp_ieee_div_zero 0
		.amdhsa_exception_fp_ieee_overflow 0
		.amdhsa_exception_fp_ieee_underflow 0
		.amdhsa_exception_fp_ieee_inexact 0
		.amdhsa_exception_int_div_zero 0
	.end_amdhsa_kernel
	.section	.text._ZL18rocblas_rot_kernelIiLi512EfPKP16rocblas_bfloat16S3_S0_S0_EviT2_lllT3_lllT4_lT5_li,"axG",@progbits,_ZL18rocblas_rot_kernelIiLi512EfPKP16rocblas_bfloat16S3_S0_S0_EviT2_lllT3_lllT4_lT5_li,comdat
.Lfunc_end25:
	.size	_ZL18rocblas_rot_kernelIiLi512EfPKP16rocblas_bfloat16S3_S0_S0_EviT2_lllT3_lllT4_lT5_li, .Lfunc_end25-_ZL18rocblas_rot_kernelIiLi512EfPKP16rocblas_bfloat16S3_S0_S0_EviT2_lllT3_lllT4_lT5_li
                                        ; -- End function
	.set _ZL18rocblas_rot_kernelIiLi512EfPKP16rocblas_bfloat16S3_S0_S0_EviT2_lllT3_lllT4_lT5_li.num_vgpr, 14
	.set _ZL18rocblas_rot_kernelIiLi512EfPKP16rocblas_bfloat16S3_S0_S0_EviT2_lllT3_lllT4_lT5_li.num_agpr, 0
	.set _ZL18rocblas_rot_kernelIiLi512EfPKP16rocblas_bfloat16S3_S0_S0_EviT2_lllT3_lllT4_lT5_li.numbered_sgpr, 21
	.set _ZL18rocblas_rot_kernelIiLi512EfPKP16rocblas_bfloat16S3_S0_S0_EviT2_lllT3_lllT4_lT5_li.num_named_barrier, 0
	.set _ZL18rocblas_rot_kernelIiLi512EfPKP16rocblas_bfloat16S3_S0_S0_EviT2_lllT3_lllT4_lT5_li.private_seg_size, 0
	.set _ZL18rocblas_rot_kernelIiLi512EfPKP16rocblas_bfloat16S3_S0_S0_EviT2_lllT3_lllT4_lT5_li.uses_vcc, 1
	.set _ZL18rocblas_rot_kernelIiLi512EfPKP16rocblas_bfloat16S3_S0_S0_EviT2_lllT3_lllT4_lT5_li.uses_flat_scratch, 0
	.set _ZL18rocblas_rot_kernelIiLi512EfPKP16rocblas_bfloat16S3_S0_S0_EviT2_lllT3_lllT4_lT5_li.has_dyn_sized_stack, 0
	.set _ZL18rocblas_rot_kernelIiLi512EfPKP16rocblas_bfloat16S3_S0_S0_EviT2_lllT3_lllT4_lT5_li.has_recursion, 0
	.set _ZL18rocblas_rot_kernelIiLi512EfPKP16rocblas_bfloat16S3_S0_S0_EviT2_lllT3_lllT4_lT5_li.has_indirect_call, 0
	.section	.AMDGPU.csdata,"",@progbits
; Kernel info:
; codeLenInByte = 1136
; TotalNumSgprs: 23
; NumVgprs: 14
; ScratchSize: 0
; MemoryBound: 0
; FloatMode: 240
; IeeeMode: 1
; LDSByteSize: 0 bytes/workgroup (compile time only)
; SGPRBlocks: 0
; VGPRBlocks: 0
; NumSGPRsForWavesPerEU: 23
; NumVGPRsForWavesPerEU: 14
; NamedBarCnt: 0
; Occupancy: 16
; WaveLimiterHint : 1
; COMPUTE_PGM_RSRC2:SCRATCH_EN: 0
; COMPUTE_PGM_RSRC2:USER_SGPR: 2
; COMPUTE_PGM_RSRC2:TRAP_HANDLER: 0
; COMPUTE_PGM_RSRC2:TGID_X_EN: 1
; COMPUTE_PGM_RSRC2:TGID_Y_EN: 0
; COMPUTE_PGM_RSRC2:TGID_Z_EN: 1
; COMPUTE_PGM_RSRC2:TIDIG_COMP_CNT: 0
	.section	.text._ZL18rocblas_rot_kernelIiLi512EfPKPDF16_S2_PKDF16_S4_EviT2_lllT3_lllT4_lT5_li,"axG",@progbits,_ZL18rocblas_rot_kernelIiLi512EfPKPDF16_S2_PKDF16_S4_EviT2_lllT3_lllT4_lT5_li,comdat
	.globl	_ZL18rocblas_rot_kernelIiLi512EfPKPDF16_S2_PKDF16_S4_EviT2_lllT3_lllT4_lT5_li ; -- Begin function _ZL18rocblas_rot_kernelIiLi512EfPKPDF16_S2_PKDF16_S4_EviT2_lllT3_lllT4_lT5_li
	.p2align	8
	.type	_ZL18rocblas_rot_kernelIiLi512EfPKPDF16_S2_PKDF16_S4_EviT2_lllT3_lllT4_lT5_li,@function
_ZL18rocblas_rot_kernelIiLi512EfPKPDF16_S2_PKDF16_S4_EviT2_lllT3_lllT4_lT5_li: ; @_ZL18rocblas_rot_kernelIiLi512EfPKPDF16_S2_PKDF16_S4_EviT2_lllT3_lllT4_lT5_li
; %bb.0:
	s_load_b32 s20, s[0:1], 0x68
	s_bfe_u32 s2, ttmp6, 0x40014
	s_lshr_b32 s3, ttmp7, 16
	s_add_co_i32 s2, s2, 1
	s_bfe_u32 s5, ttmp6, 0x40008
	s_mul_i32 s2, s3, s2
	s_getreg_b32 s4, hwreg(HW_REG_IB_STS2, 6, 4)
	s_add_co_i32 s5, s5, s2
	s_cmp_eq_u32 s4, 0
	s_cselect_b32 s2, s3, s5
	s_mov_b32 s3, 0
	s_wait_kmcnt 0x0
	s_cmp_ge_u32 s2, s20
	s_cbranch_scc1 .LBB26_5
; %bb.1:
	s_clause 0x2
	s_load_b32 s22, s[0:1], 0x0
	s_load_b32 s5, s[0:1], 0x7c
	s_load_b128 s[12:15], s[0:1], 0x8
	s_bfe_u32 s8, ttmp6, 0x4000c
	s_clause 0x1
	s_load_b64 s[6:7], s[0:1], 0x18
	s_load_b128 s[16:19], s[0:1], 0x28
	s_add_co_i32 s8, s8, 1
	s_and_b32 s10, ttmp6, 15
	s_mul_i32 s11, ttmp9, s8
	s_load_b64 s[8:9], s[0:1], 0x38
	s_add_co_i32 s10, s10, s11
	v_mov_b32_e32 v1, 0
	s_wait_kmcnt 0x0
	s_ashr_i32 s23, s22, 31
	s_and_b32 s5, s5, 0xffff
	s_cmp_eq_u32 s4, 0
	s_cselect_b32 s4, ttmp9, s10
	s_lshl_b64 s[14:15], s[14:15], 1
	v_mad_u32 v0, s4, s5, v0
	s_delay_alu instid0(VALU_DEP_1)
	v_mul_u64_e32 v[2:3], s[6:7], v[0:1]
	v_mul_u64_e32 v[4:5], s[8:9], v[0:1]
	s_load_b256 s[4:11], s[0:1], 0x48
	s_wait_xcnt 0x0
	s_lshl_b64 s[0:1], s[18:19], 1
	v_cmp_gt_i64_e32 vcc_lo, s[22:23], v[0:1]
	s_branch .LBB26_3
.LBB26_2:                               ;   in Loop: Header=BB26_3 Depth=1
	s_wait_xcnt 0x0
	s_or_b32 exec_lo, exec_lo, s18
	s_add_co_i32 s2, s2, 0x10000
	s_delay_alu instid0(SALU_CYCLE_1)
	s_cmp_lt_u32 s2, s20
	s_cbranch_scc0 .LBB26_5
.LBB26_3:                               ; =>This Inner Loop Header: Depth=1
	s_and_saveexec_b32 s18, vcc_lo
	s_cbranch_execz .LBB26_2
; %bb.4:                                ;   in Loop: Header=BB26_3 Depth=1
	s_load_b64 s[22:23], s[12:13], s2 offset:0x0 scale_offset
	s_load_b64 s[24:25], s[16:17], s2 offset:0x0 scale_offset
	s_wait_kmcnt 0x0
	s_mul_u64 s[26:27], s[10:11], s[2:3]
	s_delay_alu instid0(SALU_CYCLE_1) | instskip(SKIP_2) | instid1(VALU_DEP_3)
	s_lshl_b64 s[26:27], s[26:27], 1
	s_add_nc_u64 s[22:23], s[22:23], s[14:15]
	s_add_nc_u64 s[24:25], s[24:25], s[0:1]
	v_lshl_add_u64 v[6:7], v[2:3], 1, s[22:23]
	s_delay_alu instid0(VALU_DEP_3)
	v_lshl_add_u64 v[8:9], v[4:5], 1, s[24:25]
	s_add_nc_u64 s[22:23], s[8:9], s[26:27]
	s_mul_u64 s[24:25], s[6:7], s[2:3]
	global_load_u16 v0, v1, s[22:23]
	flat_load_u16 v10, v[6:7]
	flat_load_u16 v11, v[8:9]
	s_wait_xcnt 0x2
	s_lshl_b64 s[22:23], s[24:25], 1
	s_delay_alu instid0(SALU_CYCLE_1)
	s_add_nc_u64 s[22:23], s[4:5], s[22:23]
	global_load_u16 v12, v1, s[22:23]
	s_wait_loadcnt_dscnt 0x201
	v_mul_f16_e32 v13, v0, v10
	s_wait_loadcnt_dscnt 0x100
	v_mul_f16_e32 v0, v0, v11
	s_wait_loadcnt 0x0
	s_delay_alu instid0(VALU_DEP_2) | instskip(NEXT) | instid1(VALU_DEP_2)
	v_fma_f16 v11, v12, v11, -v13
	v_fmac_f16_e32 v0, v12, v10
	flat_store_b16 v[8:9], v11
	flat_store_b16 v[6:7], v0
	s_branch .LBB26_2
.LBB26_5:
	s_endpgm
	.section	.rodata,"a",@progbits
	.p2align	6, 0x0
	.amdhsa_kernel _ZL18rocblas_rot_kernelIiLi512EfPKPDF16_S2_PKDF16_S4_EviT2_lllT3_lllT4_lT5_li
		.amdhsa_group_segment_fixed_size 0
		.amdhsa_private_segment_fixed_size 0
		.amdhsa_kernarg_size 368
		.amdhsa_user_sgpr_count 2
		.amdhsa_user_sgpr_dispatch_ptr 0
		.amdhsa_user_sgpr_queue_ptr 0
		.amdhsa_user_sgpr_kernarg_segment_ptr 1
		.amdhsa_user_sgpr_dispatch_id 0
		.amdhsa_user_sgpr_kernarg_preload_length 0
		.amdhsa_user_sgpr_kernarg_preload_offset 0
		.amdhsa_user_sgpr_private_segment_size 0
		.amdhsa_wavefront_size32 1
		.amdhsa_uses_dynamic_stack 0
		.amdhsa_enable_private_segment 0
		.amdhsa_system_sgpr_workgroup_id_x 1
		.amdhsa_system_sgpr_workgroup_id_y 0
		.amdhsa_system_sgpr_workgroup_id_z 1
		.amdhsa_system_sgpr_workgroup_info 0
		.amdhsa_system_vgpr_workitem_id 0
		.amdhsa_next_free_vgpr 14
		.amdhsa_next_free_sgpr 28
		.amdhsa_named_barrier_count 0
		.amdhsa_reserve_vcc 1
		.amdhsa_float_round_mode_32 0
		.amdhsa_float_round_mode_16_64 0
		.amdhsa_float_denorm_mode_32 3
		.amdhsa_float_denorm_mode_16_64 3
		.amdhsa_fp16_overflow 0
		.amdhsa_memory_ordered 1
		.amdhsa_forward_progress 1
		.amdhsa_inst_pref_size 4
		.amdhsa_round_robin_scheduling 0
		.amdhsa_exception_fp_ieee_invalid_op 0
		.amdhsa_exception_fp_denorm_src 0
		.amdhsa_exception_fp_ieee_div_zero 0
		.amdhsa_exception_fp_ieee_overflow 0
		.amdhsa_exception_fp_ieee_underflow 0
		.amdhsa_exception_fp_ieee_inexact 0
		.amdhsa_exception_int_div_zero 0
	.end_amdhsa_kernel
	.section	.text._ZL18rocblas_rot_kernelIiLi512EfPKPDF16_S2_PKDF16_S4_EviT2_lllT3_lllT4_lT5_li,"axG",@progbits,_ZL18rocblas_rot_kernelIiLi512EfPKPDF16_S2_PKDF16_S4_EviT2_lllT3_lllT4_lT5_li,comdat
.Lfunc_end26:
	.size	_ZL18rocblas_rot_kernelIiLi512EfPKPDF16_S2_PKDF16_S4_EviT2_lllT3_lllT4_lT5_li, .Lfunc_end26-_ZL18rocblas_rot_kernelIiLi512EfPKPDF16_S2_PKDF16_S4_EviT2_lllT3_lllT4_lT5_li
                                        ; -- End function
	.set _ZL18rocblas_rot_kernelIiLi512EfPKPDF16_S2_PKDF16_S4_EviT2_lllT3_lllT4_lT5_li.num_vgpr, 14
	.set _ZL18rocblas_rot_kernelIiLi512EfPKPDF16_S2_PKDF16_S4_EviT2_lllT3_lllT4_lT5_li.num_agpr, 0
	.set _ZL18rocblas_rot_kernelIiLi512EfPKPDF16_S2_PKDF16_S4_EviT2_lllT3_lllT4_lT5_li.numbered_sgpr, 28
	.set _ZL18rocblas_rot_kernelIiLi512EfPKPDF16_S2_PKDF16_S4_EviT2_lllT3_lllT4_lT5_li.num_named_barrier, 0
	.set _ZL18rocblas_rot_kernelIiLi512EfPKPDF16_S2_PKDF16_S4_EviT2_lllT3_lllT4_lT5_li.private_seg_size, 0
	.set _ZL18rocblas_rot_kernelIiLi512EfPKPDF16_S2_PKDF16_S4_EviT2_lllT3_lllT4_lT5_li.uses_vcc, 1
	.set _ZL18rocblas_rot_kernelIiLi512EfPKPDF16_S2_PKDF16_S4_EviT2_lllT3_lllT4_lT5_li.uses_flat_scratch, 0
	.set _ZL18rocblas_rot_kernelIiLi512EfPKPDF16_S2_PKDF16_S4_EviT2_lllT3_lllT4_lT5_li.has_dyn_sized_stack, 0
	.set _ZL18rocblas_rot_kernelIiLi512EfPKPDF16_S2_PKDF16_S4_EviT2_lllT3_lllT4_lT5_li.has_recursion, 0
	.set _ZL18rocblas_rot_kernelIiLi512EfPKPDF16_S2_PKDF16_S4_EviT2_lllT3_lllT4_lT5_li.has_indirect_call, 0
	.section	.AMDGPU.csdata,"",@progbits
; Kernel info:
; codeLenInByte = 460
; TotalNumSgprs: 30
; NumVgprs: 14
; ScratchSize: 0
; MemoryBound: 0
; FloatMode: 240
; IeeeMode: 1
; LDSByteSize: 0 bytes/workgroup (compile time only)
; SGPRBlocks: 0
; VGPRBlocks: 0
; NumSGPRsForWavesPerEU: 30
; NumVGPRsForWavesPerEU: 14
; NamedBarCnt: 0
; Occupancy: 16
; WaveLimiterHint : 1
; COMPUTE_PGM_RSRC2:SCRATCH_EN: 0
; COMPUTE_PGM_RSRC2:USER_SGPR: 2
; COMPUTE_PGM_RSRC2:TRAP_HANDLER: 0
; COMPUTE_PGM_RSRC2:TGID_X_EN: 1
; COMPUTE_PGM_RSRC2:TGID_Y_EN: 0
; COMPUTE_PGM_RSRC2:TGID_Z_EN: 1
; COMPUTE_PGM_RSRC2:TIDIG_COMP_CNT: 0
	.section	.text._ZL18rocblas_rot_kernelIiLi512EfPKPDF16_S2_DF16_DF16_EviT2_lllT3_lllT4_lT5_li,"axG",@progbits,_ZL18rocblas_rot_kernelIiLi512EfPKPDF16_S2_DF16_DF16_EviT2_lllT3_lllT4_lT5_li,comdat
	.globl	_ZL18rocblas_rot_kernelIiLi512EfPKPDF16_S2_DF16_DF16_EviT2_lllT3_lllT4_lT5_li ; -- Begin function _ZL18rocblas_rot_kernelIiLi512EfPKPDF16_S2_DF16_DF16_EviT2_lllT3_lllT4_lT5_li
	.p2align	8
	.type	_ZL18rocblas_rot_kernelIiLi512EfPKPDF16_S2_DF16_DF16_EviT2_lllT3_lllT4_lT5_li,@function
_ZL18rocblas_rot_kernelIiLi512EfPKPDF16_S2_DF16_DF16_EviT2_lllT3_lllT4_lT5_li: ; @_ZL18rocblas_rot_kernelIiLi512EfPKPDF16_S2_DF16_DF16_EviT2_lllT3_lllT4_lT5_li
; %bb.0:
	s_load_b32 s12, s[0:1], 0x68
	s_bfe_u32 s2, ttmp6, 0x40014
	s_lshr_b32 s3, ttmp7, 16
	s_add_co_i32 s2, s2, 1
	s_bfe_u32 s5, ttmp6, 0x40008
	s_mul_i32 s4, s3, s2
	s_getreg_b32 s2, hwreg(HW_REG_IB_STS2, 6, 4)
	s_add_co_i32 s5, s5, s4
	s_cmp_eq_u32 s2, 0
	s_cselect_b32 s13, s3, s5
	s_wait_kmcnt 0x0
	s_cmp_ge_u32 s13, s12
	s_cbranch_scc1 .LBB27_5
; %bb.1:
	s_clause 0x2
	s_load_b32 s16, s[0:1], 0x0
	s_load_b32 s3, s[0:1], 0x7c
	s_load_b128 s[4:7], s[0:1], 0x8
	s_bfe_u32 s8, ttmp6, 0x4000c
	s_clause 0x1
	s_load_b64 s[18:19], s[0:1], 0x18
	s_load_b64 s[20:21], s[0:1], 0x38
	s_add_co_i32 s8, s8, 1
	s_and_b32 s9, ttmp6, 15
	s_mul_i32 s8, ttmp9, s8
	v_mov_b32_e32 v5, 0
	s_add_co_i32 s9, s9, s8
	s_wait_kmcnt 0x0
	s_ashr_i32 s17, s16, 31
	s_and_b32 s3, s3, 0xffff
	s_cmp_eq_u32 s2, 0
	s_cselect_b32 s2, ttmp9, s9
	s_clause 0x2
	s_load_b32 s14, s[0:1], 0x48
	s_load_b32 s15, s[0:1], 0x58
	s_load_b128 s[8:11], s[0:1], 0x28
	v_mad_u32 v4, s2, s3, v0
	s_lshl_b64 s[2:3], s[6:7], 1
	s_delay_alu instid0(VALU_DEP_1)
	v_mul_u64_e32 v[0:1], s[18:19], v[4:5]
	v_mul_u64_e32 v[2:3], s[20:21], v[4:5]
	v_cmp_gt_i64_e32 vcc_lo, s[16:17], v[4:5]
	s_wait_kmcnt 0x0
	s_lshl_b64 s[0:1], s[10:11], 1
	s_branch .LBB27_3
.LBB27_2:                               ;   in Loop: Header=BB27_3 Depth=1
	s_wait_xcnt 0x0
	s_or_b32 exec_lo, exec_lo, s6
	s_add_co_i32 s13, s13, 0x10000
	s_delay_alu instid0(SALU_CYCLE_1)
	s_cmp_lt_u32 s13, s12
	s_cbranch_scc0 .LBB27_5
.LBB27_3:                               ; =>This Inner Loop Header: Depth=1
	s_and_saveexec_b32 s6, vcc_lo
	s_cbranch_execz .LBB27_2
; %bb.4:                                ;   in Loop: Header=BB27_3 Depth=1
	s_load_b64 s[10:11], s[4:5], s13 offset:0x0 scale_offset
	s_load_b64 s[16:17], s[8:9], s13 offset:0x0 scale_offset
	s_wait_kmcnt 0x0
	s_add_nc_u64 s[10:11], s[10:11], s[2:3]
	s_add_nc_u64 s[16:17], s[16:17], s[0:1]
	s_delay_alu instid0(VALU_DEP_3) | instskip(NEXT) | instid1(VALU_DEP_3)
	v_lshl_add_u64 v[4:5], v[0:1], 1, s[10:11]
	v_lshl_add_u64 v[6:7], v[2:3], 1, s[16:17]
	flat_load_u16 v8, v[4:5]
	flat_load_u16 v9, v[6:7]
	s_wait_loadcnt_dscnt 0x101
	v_mul_f16_e32 v10, s15, v8
	s_wait_loadcnt_dscnt 0x0
	v_mul_f16_e32 v11, s15, v9
	s_delay_alu instid0(VALU_DEP_2) | instskip(NEXT) | instid1(VALU_DEP_2)
	v_fma_f16 v9, s14, v9, -v10
	v_fmac_f16_e32 v11, s14, v8
	flat_store_b16 v[6:7], v9
	flat_store_b16 v[4:5], v11
	s_branch .LBB27_2
.LBB27_5:
	s_endpgm
	.section	.rodata,"a",@progbits
	.p2align	6, 0x0
	.amdhsa_kernel _ZL18rocblas_rot_kernelIiLi512EfPKPDF16_S2_DF16_DF16_EviT2_lllT3_lllT4_lT5_li
		.amdhsa_group_segment_fixed_size 0
		.amdhsa_private_segment_fixed_size 0
		.amdhsa_kernarg_size 368
		.amdhsa_user_sgpr_count 2
		.amdhsa_user_sgpr_dispatch_ptr 0
		.amdhsa_user_sgpr_queue_ptr 0
		.amdhsa_user_sgpr_kernarg_segment_ptr 1
		.amdhsa_user_sgpr_dispatch_id 0
		.amdhsa_user_sgpr_kernarg_preload_length 0
		.amdhsa_user_sgpr_kernarg_preload_offset 0
		.amdhsa_user_sgpr_private_segment_size 0
		.amdhsa_wavefront_size32 1
		.amdhsa_uses_dynamic_stack 0
		.amdhsa_enable_private_segment 0
		.amdhsa_system_sgpr_workgroup_id_x 1
		.amdhsa_system_sgpr_workgroup_id_y 0
		.amdhsa_system_sgpr_workgroup_id_z 1
		.amdhsa_system_sgpr_workgroup_info 0
		.amdhsa_system_vgpr_workitem_id 0
		.amdhsa_next_free_vgpr 12
		.amdhsa_next_free_sgpr 22
		.amdhsa_named_barrier_count 0
		.amdhsa_reserve_vcc 1
		.amdhsa_float_round_mode_32 0
		.amdhsa_float_round_mode_16_64 0
		.amdhsa_float_denorm_mode_32 3
		.amdhsa_float_denorm_mode_16_64 3
		.amdhsa_fp16_overflow 0
		.amdhsa_memory_ordered 1
		.amdhsa_forward_progress 1
		.amdhsa_inst_pref_size 4
		.amdhsa_round_robin_scheduling 0
		.amdhsa_exception_fp_ieee_invalid_op 0
		.amdhsa_exception_fp_denorm_src 0
		.amdhsa_exception_fp_ieee_div_zero 0
		.amdhsa_exception_fp_ieee_overflow 0
		.amdhsa_exception_fp_ieee_underflow 0
		.amdhsa_exception_fp_ieee_inexact 0
		.amdhsa_exception_int_div_zero 0
	.end_amdhsa_kernel
	.section	.text._ZL18rocblas_rot_kernelIiLi512EfPKPDF16_S2_DF16_DF16_EviT2_lllT3_lllT4_lT5_li,"axG",@progbits,_ZL18rocblas_rot_kernelIiLi512EfPKPDF16_S2_DF16_DF16_EviT2_lllT3_lllT4_lT5_li,comdat
.Lfunc_end27:
	.size	_ZL18rocblas_rot_kernelIiLi512EfPKPDF16_S2_DF16_DF16_EviT2_lllT3_lllT4_lT5_li, .Lfunc_end27-_ZL18rocblas_rot_kernelIiLi512EfPKPDF16_S2_DF16_DF16_EviT2_lllT3_lllT4_lT5_li
                                        ; -- End function
	.set _ZL18rocblas_rot_kernelIiLi512EfPKPDF16_S2_DF16_DF16_EviT2_lllT3_lllT4_lT5_li.num_vgpr, 12
	.set _ZL18rocblas_rot_kernelIiLi512EfPKPDF16_S2_DF16_DF16_EviT2_lllT3_lllT4_lT5_li.num_agpr, 0
	.set _ZL18rocblas_rot_kernelIiLi512EfPKPDF16_S2_DF16_DF16_EviT2_lllT3_lllT4_lT5_li.numbered_sgpr, 22
	.set _ZL18rocblas_rot_kernelIiLi512EfPKPDF16_S2_DF16_DF16_EviT2_lllT3_lllT4_lT5_li.num_named_barrier, 0
	.set _ZL18rocblas_rot_kernelIiLi512EfPKPDF16_S2_DF16_DF16_EviT2_lllT3_lllT4_lT5_li.private_seg_size, 0
	.set _ZL18rocblas_rot_kernelIiLi512EfPKPDF16_S2_DF16_DF16_EviT2_lllT3_lllT4_lT5_li.uses_vcc, 1
	.set _ZL18rocblas_rot_kernelIiLi512EfPKPDF16_S2_DF16_DF16_EviT2_lllT3_lllT4_lT5_li.uses_flat_scratch, 0
	.set _ZL18rocblas_rot_kernelIiLi512EfPKPDF16_S2_DF16_DF16_EviT2_lllT3_lllT4_lT5_li.has_dyn_sized_stack, 0
	.set _ZL18rocblas_rot_kernelIiLi512EfPKPDF16_S2_DF16_DF16_EviT2_lllT3_lllT4_lT5_li.has_recursion, 0
	.set _ZL18rocblas_rot_kernelIiLi512EfPKPDF16_S2_DF16_DF16_EviT2_lllT3_lllT4_lT5_li.has_indirect_call, 0
	.section	.AMDGPU.csdata,"",@progbits
; Kernel info:
; codeLenInByte = 404
; TotalNumSgprs: 24
; NumVgprs: 12
; ScratchSize: 0
; MemoryBound: 0
; FloatMode: 240
; IeeeMode: 1
; LDSByteSize: 0 bytes/workgroup (compile time only)
; SGPRBlocks: 0
; VGPRBlocks: 0
; NumSGPRsForWavesPerEU: 24
; NumVGPRsForWavesPerEU: 12
; NamedBarCnt: 0
; Occupancy: 16
; WaveLimiterHint : 1
; COMPUTE_PGM_RSRC2:SCRATCH_EN: 0
; COMPUTE_PGM_RSRC2:USER_SGPR: 2
; COMPUTE_PGM_RSRC2:TRAP_HANDLER: 0
; COMPUTE_PGM_RSRC2:TGID_X_EN: 1
; COMPUTE_PGM_RSRC2:TGID_Y_EN: 0
; COMPUTE_PGM_RSRC2:TGID_Z_EN: 1
; COMPUTE_PGM_RSRC2:TIDIG_COMP_CNT: 0
	.section	.text._ZL18rocblas_rot_kernelIiLi512E19rocblas_complex_numIfEPKPS1_S4_PKfS6_EviT2_lllT3_lllT4_lT5_li,"axG",@progbits,_ZL18rocblas_rot_kernelIiLi512E19rocblas_complex_numIfEPKPS1_S4_PKfS6_EviT2_lllT3_lllT4_lT5_li,comdat
	.globl	_ZL18rocblas_rot_kernelIiLi512E19rocblas_complex_numIfEPKPS1_S4_PKfS6_EviT2_lllT3_lllT4_lT5_li ; -- Begin function _ZL18rocblas_rot_kernelIiLi512E19rocblas_complex_numIfEPKPS1_S4_PKfS6_EviT2_lllT3_lllT4_lT5_li
	.p2align	8
	.type	_ZL18rocblas_rot_kernelIiLi512E19rocblas_complex_numIfEPKPS1_S4_PKfS6_EviT2_lllT3_lllT4_lT5_li,@function
_ZL18rocblas_rot_kernelIiLi512E19rocblas_complex_numIfEPKPS1_S4_PKfS6_EviT2_lllT3_lllT4_lT5_li: ; @_ZL18rocblas_rot_kernelIiLi512E19rocblas_complex_numIfEPKPS1_S4_PKfS6_EviT2_lllT3_lllT4_lT5_li
; %bb.0:
	s_load_b32 s20, s[0:1], 0x68
	s_bfe_u32 s2, ttmp6, 0x40014
	s_lshr_b32 s3, ttmp7, 16
	s_add_co_i32 s2, s2, 1
	s_bfe_u32 s5, ttmp6, 0x40008
	s_mul_i32 s2, s3, s2
	s_getreg_b32 s4, hwreg(HW_REG_IB_STS2, 6, 4)
	s_add_co_i32 s5, s5, s2
	s_cmp_eq_u32 s4, 0
	s_cselect_b32 s2, s3, s5
	s_mov_b32 s3, 0
	s_wait_kmcnt 0x0
	s_cmp_ge_u32 s2, s20
	s_cbranch_scc1 .LBB28_5
; %bb.1:
	s_clause 0x2
	s_load_b32 s22, s[0:1], 0x0
	s_load_b32 s5, s[0:1], 0x7c
	s_load_b128 s[12:15], s[0:1], 0x8
	s_bfe_u32 s8, ttmp6, 0x4000c
	s_clause 0x1
	s_load_b64 s[6:7], s[0:1], 0x18
	s_load_b128 s[16:19], s[0:1], 0x28
	s_add_co_i32 s8, s8, 1
	s_and_b32 s10, ttmp6, 15
	s_mul_i32 s11, ttmp9, s8
	s_load_b64 s[8:9], s[0:1], 0x38
	s_add_co_i32 s10, s10, s11
	v_mov_b32_e32 v1, 0
	s_wait_kmcnt 0x0
	s_ashr_i32 s23, s22, 31
	s_and_b32 s5, s5, 0xffff
	s_cmp_eq_u32 s4, 0
	s_cselect_b32 s4, ttmp9, s10
	s_lshl_b64 s[14:15], s[14:15], 3
	v_mad_u32 v0, s4, s5, v0
	s_delay_alu instid0(VALU_DEP_1)
	v_mul_u64_e32 v[2:3], s[6:7], v[0:1]
	v_mul_u64_e32 v[4:5], s[8:9], v[0:1]
	s_load_b256 s[4:11], s[0:1], 0x48
	s_wait_xcnt 0x0
	s_lshl_b64 s[0:1], s[18:19], 3
	v_cmp_gt_i64_e32 vcc_lo, s[22:23], v[0:1]
	s_branch .LBB28_3
.LBB28_2:                               ;   in Loop: Header=BB28_3 Depth=1
	s_wait_xcnt 0x0
	s_or_b32 exec_lo, exec_lo, s18
	s_add_co_i32 s2, s2, 0x10000
	s_delay_alu instid0(SALU_CYCLE_1)
	s_cmp_lt_u32 s2, s20
	s_cbranch_scc0 .LBB28_5
.LBB28_3:                               ; =>This Inner Loop Header: Depth=1
	s_and_saveexec_b32 s18, vcc_lo
	s_cbranch_execz .LBB28_2
; %bb.4:                                ;   in Loop: Header=BB28_3 Depth=1
	s_load_b64 s[22:23], s[12:13], s2 offset:0x0 scale_offset
	s_load_b64 s[24:25], s[16:17], s2 offset:0x0 scale_offset
	s_wait_kmcnt 0x0
	s_mul_u64 s[26:27], s[10:11], s[2:3]
	s_delay_alu instid0(SALU_CYCLE_1) | instskip(SKIP_2) | instid1(VALU_DEP_3)
	s_lshl_b64 s[26:27], s[26:27], 2
	s_add_nc_u64 s[22:23], s[22:23], s[14:15]
	s_add_nc_u64 s[24:25], s[24:25], s[0:1]
	v_lshl_add_u64 v[6:7], v[2:3], 3, s[22:23]
	s_delay_alu instid0(VALU_DEP_3)
	v_lshl_add_u64 v[8:9], v[4:5], 3, s[24:25]
	s_add_nc_u64 s[22:23], s[8:9], s[26:27]
	s_mul_u64 s[24:25], s[6:7], s[2:3]
	global_load_b32 v0, v1, s[22:23]
	flat_load_b64 v[10:11], v[6:7]
	flat_load_b64 v[12:13], v[8:9]
	s_wait_xcnt 0x2
	s_lshl_b64 s[22:23], s[24:25], 2
	s_delay_alu instid0(SALU_CYCLE_1)
	s_add_nc_u64 s[22:23], s[4:5], s[22:23]
	global_load_b32 v14, v1, s[22:23]
	s_wait_loadcnt_dscnt 0x201
	v_pk_mul_f32 v[16:17], v[0:1], v[10:11] op_sel_hi:[0,1]
	s_wait_loadcnt_dscnt 0x100
	v_pk_mul_f32 v[18:19], v[0:1], v[12:13] op_sel_hi:[0,1]
	s_wait_loadcnt 0x0
	s_delay_alu instid0(VALU_DEP_2) | instskip(NEXT) | instid1(VALU_DEP_2)
	v_pk_fma_f32 v[12:13], v[14:15], v[12:13], v[16:17] op_sel_hi:[0,1,1] neg_lo:[0,0,1] neg_hi:[0,0,1]
	v_pk_fma_f32 v[10:11], v[14:15], v[10:11], v[18:19] op_sel_hi:[0,1,1]
	flat_store_b64 v[8:9], v[12:13]
	flat_store_b64 v[6:7], v[10:11]
	s_branch .LBB28_2
.LBB28_5:
	s_endpgm
	.section	.rodata,"a",@progbits
	.p2align	6, 0x0
	.amdhsa_kernel _ZL18rocblas_rot_kernelIiLi512E19rocblas_complex_numIfEPKPS1_S4_PKfS6_EviT2_lllT3_lllT4_lT5_li
		.amdhsa_group_segment_fixed_size 0
		.amdhsa_private_segment_fixed_size 0
		.amdhsa_kernarg_size 368
		.amdhsa_user_sgpr_count 2
		.amdhsa_user_sgpr_dispatch_ptr 0
		.amdhsa_user_sgpr_queue_ptr 0
		.amdhsa_user_sgpr_kernarg_segment_ptr 1
		.amdhsa_user_sgpr_dispatch_id 0
		.amdhsa_user_sgpr_kernarg_preload_length 0
		.amdhsa_user_sgpr_kernarg_preload_offset 0
		.amdhsa_user_sgpr_private_segment_size 0
		.amdhsa_wavefront_size32 1
		.amdhsa_uses_dynamic_stack 0
		.amdhsa_enable_private_segment 0
		.amdhsa_system_sgpr_workgroup_id_x 1
		.amdhsa_system_sgpr_workgroup_id_y 0
		.amdhsa_system_sgpr_workgroup_id_z 1
		.amdhsa_system_sgpr_workgroup_info 0
		.amdhsa_system_vgpr_workitem_id 0
		.amdhsa_next_free_vgpr 20
		.amdhsa_next_free_sgpr 28
		.amdhsa_named_barrier_count 0
		.amdhsa_reserve_vcc 1
		.amdhsa_float_round_mode_32 0
		.amdhsa_float_round_mode_16_64 0
		.amdhsa_float_denorm_mode_32 3
		.amdhsa_float_denorm_mode_16_64 3
		.amdhsa_fp16_overflow 0
		.amdhsa_memory_ordered 1
		.amdhsa_forward_progress 1
		.amdhsa_inst_pref_size 4
		.amdhsa_round_robin_scheduling 0
		.amdhsa_exception_fp_ieee_invalid_op 0
		.amdhsa_exception_fp_denorm_src 0
		.amdhsa_exception_fp_ieee_div_zero 0
		.amdhsa_exception_fp_ieee_overflow 0
		.amdhsa_exception_fp_ieee_underflow 0
		.amdhsa_exception_fp_ieee_inexact 0
		.amdhsa_exception_int_div_zero 0
	.end_amdhsa_kernel
	.section	.text._ZL18rocblas_rot_kernelIiLi512E19rocblas_complex_numIfEPKPS1_S4_PKfS6_EviT2_lllT3_lllT4_lT5_li,"axG",@progbits,_ZL18rocblas_rot_kernelIiLi512E19rocblas_complex_numIfEPKPS1_S4_PKfS6_EviT2_lllT3_lllT4_lT5_li,comdat
.Lfunc_end28:
	.size	_ZL18rocblas_rot_kernelIiLi512E19rocblas_complex_numIfEPKPS1_S4_PKfS6_EviT2_lllT3_lllT4_lT5_li, .Lfunc_end28-_ZL18rocblas_rot_kernelIiLi512E19rocblas_complex_numIfEPKPS1_S4_PKfS6_EviT2_lllT3_lllT4_lT5_li
                                        ; -- End function
	.set _ZL18rocblas_rot_kernelIiLi512E19rocblas_complex_numIfEPKPS1_S4_PKfS6_EviT2_lllT3_lllT4_lT5_li.num_vgpr, 20
	.set _ZL18rocblas_rot_kernelIiLi512E19rocblas_complex_numIfEPKPS1_S4_PKfS6_EviT2_lllT3_lllT4_lT5_li.num_agpr, 0
	.set _ZL18rocblas_rot_kernelIiLi512E19rocblas_complex_numIfEPKPS1_S4_PKfS6_EviT2_lllT3_lllT4_lT5_li.numbered_sgpr, 28
	.set _ZL18rocblas_rot_kernelIiLi512E19rocblas_complex_numIfEPKPS1_S4_PKfS6_EviT2_lllT3_lllT4_lT5_li.num_named_barrier, 0
	.set _ZL18rocblas_rot_kernelIiLi512E19rocblas_complex_numIfEPKPS1_S4_PKfS6_EviT2_lllT3_lllT4_lT5_li.private_seg_size, 0
	.set _ZL18rocblas_rot_kernelIiLi512E19rocblas_complex_numIfEPKPS1_S4_PKfS6_EviT2_lllT3_lllT4_lT5_li.uses_vcc, 1
	.set _ZL18rocblas_rot_kernelIiLi512E19rocblas_complex_numIfEPKPS1_S4_PKfS6_EviT2_lllT3_lllT4_lT5_li.uses_flat_scratch, 0
	.set _ZL18rocblas_rot_kernelIiLi512E19rocblas_complex_numIfEPKPS1_S4_PKfS6_EviT2_lllT3_lllT4_lT5_li.has_dyn_sized_stack, 0
	.set _ZL18rocblas_rot_kernelIiLi512E19rocblas_complex_numIfEPKPS1_S4_PKfS6_EviT2_lllT3_lllT4_lT5_li.has_recursion, 0
	.set _ZL18rocblas_rot_kernelIiLi512E19rocblas_complex_numIfEPKPS1_S4_PKfS6_EviT2_lllT3_lllT4_lT5_li.has_indirect_call, 0
	.section	.AMDGPU.csdata,"",@progbits
; Kernel info:
; codeLenInByte = 472
; TotalNumSgprs: 30
; NumVgprs: 20
; ScratchSize: 0
; MemoryBound: 0
; FloatMode: 240
; IeeeMode: 1
; LDSByteSize: 0 bytes/workgroup (compile time only)
; SGPRBlocks: 0
; VGPRBlocks: 1
; NumSGPRsForWavesPerEU: 30
; NumVGPRsForWavesPerEU: 20
; NamedBarCnt: 0
; Occupancy: 16
; WaveLimiterHint : 1
; COMPUTE_PGM_RSRC2:SCRATCH_EN: 0
; COMPUTE_PGM_RSRC2:USER_SGPR: 2
; COMPUTE_PGM_RSRC2:TRAP_HANDLER: 0
; COMPUTE_PGM_RSRC2:TGID_X_EN: 1
; COMPUTE_PGM_RSRC2:TGID_Y_EN: 0
; COMPUTE_PGM_RSRC2:TGID_Z_EN: 1
; COMPUTE_PGM_RSRC2:TIDIG_COMP_CNT: 0
	.section	.text._ZL18rocblas_rot_kernelIiLi512E19rocblas_complex_numIfEPKPS1_S4_ffEviT2_lllT3_lllT4_lT5_li,"axG",@progbits,_ZL18rocblas_rot_kernelIiLi512E19rocblas_complex_numIfEPKPS1_S4_ffEviT2_lllT3_lllT4_lT5_li,comdat
	.globl	_ZL18rocblas_rot_kernelIiLi512E19rocblas_complex_numIfEPKPS1_S4_ffEviT2_lllT3_lllT4_lT5_li ; -- Begin function _ZL18rocblas_rot_kernelIiLi512E19rocblas_complex_numIfEPKPS1_S4_ffEviT2_lllT3_lllT4_lT5_li
	.p2align	8
	.type	_ZL18rocblas_rot_kernelIiLi512E19rocblas_complex_numIfEPKPS1_S4_ffEviT2_lllT3_lllT4_lT5_li,@function
_ZL18rocblas_rot_kernelIiLi512E19rocblas_complex_numIfEPKPS1_S4_ffEviT2_lllT3_lllT4_lT5_li: ; @_ZL18rocblas_rot_kernelIiLi512E19rocblas_complex_numIfEPKPS1_S4_ffEviT2_lllT3_lllT4_lT5_li
; %bb.0:
	s_load_b32 s14, s[0:1], 0x68
	s_bfe_u32 s2, ttmp6, 0x40014
	s_lshr_b32 s3, ttmp7, 16
	s_add_co_i32 s2, s2, 1
	s_bfe_u32 s5, ttmp6, 0x40008
	s_mul_i32 s4, s3, s2
	s_getreg_b32 s2, hwreg(HW_REG_IB_STS2, 6, 4)
	s_add_co_i32 s5, s5, s4
	s_cmp_eq_u32 s2, 0
	s_cselect_b32 s15, s3, s5
	s_wait_kmcnt 0x0
	s_cmp_ge_u32 s15, s14
	s_cbranch_scc1 .LBB29_5
; %bb.1:
	s_clause 0x2
	s_load_b32 s16, s[0:1], 0x0
	s_load_b32 s3, s[0:1], 0x7c
	s_load_b128 s[4:7], s[0:1], 0x8
	s_bfe_u32 s8, ttmp6, 0x4000c
	s_clause 0x1
	s_load_b64 s[18:19], s[0:1], 0x18
	s_load_b64 s[20:21], s[0:1], 0x38
	s_add_co_i32 s8, s8, 1
	s_and_b32 s9, ttmp6, 15
	s_mul_i32 s8, ttmp9, s8
	v_mov_b32_e32 v5, 0
	s_add_co_i32 s9, s9, s8
	s_wait_kmcnt 0x0
	s_ashr_i32 s17, s16, 31
	s_and_b32 s3, s3, 0xffff
	s_cmp_eq_u32 s2, 0
	s_cselect_b32 s2, ttmp9, s9
	s_lshl_b64 s[6:7], s[6:7], 3
	v_mad_u32 v4, s2, s3, v0
	s_clause 0x2
	s_load_b32 s2, s[0:1], 0x48
	s_load_b32 s12, s[0:1], 0x58
	s_load_b128 s[8:11], s[0:1], 0x28
	s_delay_alu instid0(VALU_DEP_1)
	v_mul_u64_e32 v[0:1], s[18:19], v[4:5]
	v_mul_u64_e32 v[2:3], s[20:21], v[4:5]
	v_cmp_gt_i64_e32 vcc_lo, s[16:17], v[4:5]
	s_wait_kmcnt 0x0
	s_mov_b32 s3, s2
	s_mov_b32 s13, s12
	s_lshl_b64 s[0:1], s[10:11], 3
	s_branch .LBB29_3
.LBB29_2:                               ;   in Loop: Header=BB29_3 Depth=1
	s_wait_xcnt 0x0
	s_or_b32 exec_lo, exec_lo, s10
	s_add_co_i32 s15, s15, 0x10000
	s_delay_alu instid0(SALU_CYCLE_1)
	s_cmp_lt_u32 s15, s14
	s_cbranch_scc0 .LBB29_5
.LBB29_3:                               ; =>This Inner Loop Header: Depth=1
	s_and_saveexec_b32 s10, vcc_lo
	s_cbranch_execz .LBB29_2
; %bb.4:                                ;   in Loop: Header=BB29_3 Depth=1
	s_load_b64 s[16:17], s[4:5], s15 offset:0x0 scale_offset
	s_load_b64 s[18:19], s[8:9], s15 offset:0x0 scale_offset
	v_mov_b64_e32 v[12:13], s[12:13]
	v_mov_b64_e32 v[14:15], s[2:3]
	s_wait_kmcnt 0x0
	s_add_nc_u64 s[16:17], s[16:17], s[6:7]
	s_add_nc_u64 s[18:19], s[18:19], s[0:1]
	v_lshl_add_u64 v[4:5], v[0:1], 3, s[16:17]
	v_lshl_add_u64 v[6:7], v[2:3], 3, s[18:19]
	flat_load_b64 v[8:9], v[4:5]
	flat_load_b64 v[10:11], v[6:7]
	s_wait_loadcnt_dscnt 0x101
	v_pk_mul_f32 v[16:17], v[12:13], v[8:9]
	s_wait_loadcnt_dscnt 0x0
	v_pk_mul_f32 v[12:13], v[12:13], v[10:11]
	s_delay_alu instid0(VALU_DEP_2) | instskip(NEXT) | instid1(VALU_DEP_2)
	v_pk_fma_f32 v[10:11], v[14:15], v[10:11], v[16:17] neg_lo:[0,0,1] neg_hi:[0,0,1]
	v_pk_fma_f32 v[8:9], v[14:15], v[8:9], v[12:13]
	flat_store_b64 v[6:7], v[10:11]
	flat_store_b64 v[4:5], v[8:9]
	s_branch .LBB29_2
.LBB29_5:
	s_endpgm
	.section	.rodata,"a",@progbits
	.p2align	6, 0x0
	.amdhsa_kernel _ZL18rocblas_rot_kernelIiLi512E19rocblas_complex_numIfEPKPS1_S4_ffEviT2_lllT3_lllT4_lT5_li
		.amdhsa_group_segment_fixed_size 0
		.amdhsa_private_segment_fixed_size 0
		.amdhsa_kernarg_size 368
		.amdhsa_user_sgpr_count 2
		.amdhsa_user_sgpr_dispatch_ptr 0
		.amdhsa_user_sgpr_queue_ptr 0
		.amdhsa_user_sgpr_kernarg_segment_ptr 1
		.amdhsa_user_sgpr_dispatch_id 0
		.amdhsa_user_sgpr_kernarg_preload_length 0
		.amdhsa_user_sgpr_kernarg_preload_offset 0
		.amdhsa_user_sgpr_private_segment_size 0
		.amdhsa_wavefront_size32 1
		.amdhsa_uses_dynamic_stack 0
		.amdhsa_enable_private_segment 0
		.amdhsa_system_sgpr_workgroup_id_x 1
		.amdhsa_system_sgpr_workgroup_id_y 0
		.amdhsa_system_sgpr_workgroup_id_z 1
		.amdhsa_system_sgpr_workgroup_info 0
		.amdhsa_system_vgpr_workitem_id 0
		.amdhsa_next_free_vgpr 18
		.amdhsa_next_free_sgpr 22
		.amdhsa_named_barrier_count 0
		.amdhsa_reserve_vcc 1
		.amdhsa_float_round_mode_32 0
		.amdhsa_float_round_mode_16_64 0
		.amdhsa_float_denorm_mode_32 3
		.amdhsa_float_denorm_mode_16_64 3
		.amdhsa_fp16_overflow 0
		.amdhsa_memory_ordered 1
		.amdhsa_forward_progress 1
		.amdhsa_inst_pref_size 4
		.amdhsa_round_robin_scheduling 0
		.amdhsa_exception_fp_ieee_invalid_op 0
		.amdhsa_exception_fp_denorm_src 0
		.amdhsa_exception_fp_ieee_div_zero 0
		.amdhsa_exception_fp_ieee_overflow 0
		.amdhsa_exception_fp_ieee_underflow 0
		.amdhsa_exception_fp_ieee_inexact 0
		.amdhsa_exception_int_div_zero 0
	.end_amdhsa_kernel
	.section	.text._ZL18rocblas_rot_kernelIiLi512E19rocblas_complex_numIfEPKPS1_S4_ffEviT2_lllT3_lllT4_lT5_li,"axG",@progbits,_ZL18rocblas_rot_kernelIiLi512E19rocblas_complex_numIfEPKPS1_S4_ffEviT2_lllT3_lllT4_lT5_li,comdat
.Lfunc_end29:
	.size	_ZL18rocblas_rot_kernelIiLi512E19rocblas_complex_numIfEPKPS1_S4_ffEviT2_lllT3_lllT4_lT5_li, .Lfunc_end29-_ZL18rocblas_rot_kernelIiLi512E19rocblas_complex_numIfEPKPS1_S4_ffEviT2_lllT3_lllT4_lT5_li
                                        ; -- End function
	.set _ZL18rocblas_rot_kernelIiLi512E19rocblas_complex_numIfEPKPS1_S4_ffEviT2_lllT3_lllT4_lT5_li.num_vgpr, 18
	.set _ZL18rocblas_rot_kernelIiLi512E19rocblas_complex_numIfEPKPS1_S4_ffEviT2_lllT3_lllT4_lT5_li.num_agpr, 0
	.set _ZL18rocblas_rot_kernelIiLi512E19rocblas_complex_numIfEPKPS1_S4_ffEviT2_lllT3_lllT4_lT5_li.numbered_sgpr, 22
	.set _ZL18rocblas_rot_kernelIiLi512E19rocblas_complex_numIfEPKPS1_S4_ffEviT2_lllT3_lllT4_lT5_li.num_named_barrier, 0
	.set _ZL18rocblas_rot_kernelIiLi512E19rocblas_complex_numIfEPKPS1_S4_ffEviT2_lllT3_lllT4_lT5_li.private_seg_size, 0
	.set _ZL18rocblas_rot_kernelIiLi512E19rocblas_complex_numIfEPKPS1_S4_ffEviT2_lllT3_lllT4_lT5_li.uses_vcc, 1
	.set _ZL18rocblas_rot_kernelIiLi512E19rocblas_complex_numIfEPKPS1_S4_ffEviT2_lllT3_lllT4_lT5_li.uses_flat_scratch, 0
	.set _ZL18rocblas_rot_kernelIiLi512E19rocblas_complex_numIfEPKPS1_S4_ffEviT2_lllT3_lllT4_lT5_li.has_dyn_sized_stack, 0
	.set _ZL18rocblas_rot_kernelIiLi512E19rocblas_complex_numIfEPKPS1_S4_ffEviT2_lllT3_lllT4_lT5_li.has_recursion, 0
	.set _ZL18rocblas_rot_kernelIiLi512E19rocblas_complex_numIfEPKPS1_S4_ffEviT2_lllT3_lllT4_lT5_li.has_indirect_call, 0
	.section	.AMDGPU.csdata,"",@progbits
; Kernel info:
; codeLenInByte = 428
; TotalNumSgprs: 24
; NumVgprs: 18
; ScratchSize: 0
; MemoryBound: 0
; FloatMode: 240
; IeeeMode: 1
; LDSByteSize: 0 bytes/workgroup (compile time only)
; SGPRBlocks: 0
; VGPRBlocks: 1
; NumSGPRsForWavesPerEU: 24
; NumVGPRsForWavesPerEU: 18
; NamedBarCnt: 0
; Occupancy: 16
; WaveLimiterHint : 1
; COMPUTE_PGM_RSRC2:SCRATCH_EN: 0
; COMPUTE_PGM_RSRC2:USER_SGPR: 2
; COMPUTE_PGM_RSRC2:TRAP_HANDLER: 0
; COMPUTE_PGM_RSRC2:TGID_X_EN: 1
; COMPUTE_PGM_RSRC2:TGID_Y_EN: 0
; COMPUTE_PGM_RSRC2:TGID_Z_EN: 1
; COMPUTE_PGM_RSRC2:TIDIG_COMP_CNT: 0
	.section	.text._ZL18rocblas_rot_kernelIiLi512E19rocblas_complex_numIfEPKPS1_S4_PKfPKS1_EviT2_lllT3_lllT4_lT5_li,"axG",@progbits,_ZL18rocblas_rot_kernelIiLi512E19rocblas_complex_numIfEPKPS1_S4_PKfPKS1_EviT2_lllT3_lllT4_lT5_li,comdat
	.globl	_ZL18rocblas_rot_kernelIiLi512E19rocblas_complex_numIfEPKPS1_S4_PKfPKS1_EviT2_lllT3_lllT4_lT5_li ; -- Begin function _ZL18rocblas_rot_kernelIiLi512E19rocblas_complex_numIfEPKPS1_S4_PKfPKS1_EviT2_lllT3_lllT4_lT5_li
	.p2align	8
	.type	_ZL18rocblas_rot_kernelIiLi512E19rocblas_complex_numIfEPKPS1_S4_PKfPKS1_EviT2_lllT3_lllT4_lT5_li,@function
_ZL18rocblas_rot_kernelIiLi512E19rocblas_complex_numIfEPKPS1_S4_PKfPKS1_EviT2_lllT3_lllT4_lT5_li: ; @_ZL18rocblas_rot_kernelIiLi512E19rocblas_complex_numIfEPKPS1_S4_PKfPKS1_EviT2_lllT3_lllT4_lT5_li
; %bb.0:
	s_load_b32 s20, s[0:1], 0x68
	s_bfe_u32 s2, ttmp6, 0x40014
	s_lshr_b32 s3, ttmp7, 16
	s_add_co_i32 s2, s2, 1
	s_bfe_u32 s5, ttmp6, 0x40008
	s_mul_i32 s2, s3, s2
	s_getreg_b32 s4, hwreg(HW_REG_IB_STS2, 6, 4)
	s_add_co_i32 s5, s5, s2
	s_cmp_eq_u32 s4, 0
	s_cselect_b32 s2, s3, s5
	s_mov_b32 s3, 0
	s_wait_kmcnt 0x0
	s_cmp_ge_u32 s2, s20
	s_cbranch_scc1 .LBB30_5
; %bb.1:
	s_clause 0x2
	s_load_b32 s22, s[0:1], 0x0
	s_load_b32 s5, s[0:1], 0x7c
	s_load_b128 s[12:15], s[0:1], 0x8
	s_bfe_u32 s8, ttmp6, 0x4000c
	s_clause 0x1
	s_load_b64 s[6:7], s[0:1], 0x18
	s_load_b128 s[16:19], s[0:1], 0x28
	s_add_co_i32 s8, s8, 1
	s_and_b32 s10, ttmp6, 15
	s_mul_i32 s11, ttmp9, s8
	s_load_b64 s[8:9], s[0:1], 0x38
	s_add_co_i32 s10, s10, s11
	v_mov_b32_e32 v1, 0
	s_wait_kmcnt 0x0
	s_ashr_i32 s23, s22, 31
	s_and_b32 s5, s5, 0xffff
	s_cmp_eq_u32 s4, 0
	s_cselect_b32 s4, ttmp9, s10
	s_lshl_b64 s[14:15], s[14:15], 3
	v_mad_u32 v0, s4, s5, v0
	s_delay_alu instid0(VALU_DEP_1)
	v_mul_u64_e32 v[2:3], s[6:7], v[0:1]
	v_mul_u64_e32 v[4:5], s[8:9], v[0:1]
	s_load_b256 s[4:11], s[0:1], 0x48
	s_wait_xcnt 0x0
	s_lshl_b64 s[0:1], s[18:19], 3
	v_cmp_gt_i64_e32 vcc_lo, s[22:23], v[0:1]
	s_branch .LBB30_3
.LBB30_2:                               ;   in Loop: Header=BB30_3 Depth=1
	s_wait_xcnt 0x0
	s_or_b32 exec_lo, exec_lo, s18
	s_add_co_i32 s2, s2, 0x10000
	s_delay_alu instid0(SALU_CYCLE_1)
	s_cmp_lt_u32 s2, s20
	s_cbranch_scc0 .LBB30_5
.LBB30_3:                               ; =>This Inner Loop Header: Depth=1
	s_and_saveexec_b32 s18, vcc_lo
	s_cbranch_execz .LBB30_2
; %bb.4:                                ;   in Loop: Header=BB30_3 Depth=1
	s_load_b64 s[22:23], s[12:13], s2 offset:0x0 scale_offset
	s_load_b64 s[24:25], s[16:17], s2 offset:0x0 scale_offset
	s_wait_kmcnt 0x0
	s_mul_u64 s[26:27], s[10:11], s[2:3]
	s_delay_alu instid0(SALU_CYCLE_1) | instskip(SKIP_2) | instid1(VALU_DEP_3)
	s_lshl_b64 s[26:27], s[26:27], 3
	s_add_nc_u64 s[22:23], s[22:23], s[14:15]
	s_add_nc_u64 s[24:25], s[24:25], s[0:1]
	v_lshl_add_u64 v[6:7], v[2:3], 3, s[22:23]
	s_delay_alu instid0(VALU_DEP_3)
	v_lshl_add_u64 v[8:9], v[4:5], 3, s[24:25]
	s_add_nc_u64 s[22:23], s[8:9], s[26:27]
	global_load_b64 v[10:11], v1, s[22:23]
	flat_load_b64 v[12:13], v[6:7]
	flat_load_b64 v[14:15], v[8:9]
	s_wait_xcnt 0x2
	s_mul_u64 s[22:23], s[6:7], s[2:3]
	s_delay_alu instid0(SALU_CYCLE_1) | instskip(NEXT) | instid1(SALU_CYCLE_1)
	s_lshl_b64 s[22:23], s[22:23], 2
	s_add_nc_u64 s[22:23], s[4:5], s[22:23]
	global_load_b32 v0, v1, s[22:23]
	s_wait_loadcnt_dscnt 0x201
	v_pk_mul_f32 v[16:17], v[10:11], v[12:13] op_sel:[1,1] op_sel_hi:[1,0]
	s_wait_loadcnt_dscnt 0x100
	v_pk_mul_f32 v[18:19], v[10:11], v[14:15] op_sel:[1,1] op_sel_hi:[0,1]
	s_delay_alu instid0(VALU_DEP_2) | instskip(NEXT) | instid1(VALU_DEP_2)
	v_pk_fma_f32 v[20:21], v[10:11], v[12:13], v[16:17] op_sel_hi:[0,1,1] neg_lo:[0,0,1] neg_hi:[0,0,1]
	v_pk_fma_f32 v[22:23], v[10:11], v[14:15], v[18:19] op_sel_hi:[1,0,1]
	v_pk_fma_f32 v[18:19], v[10:11], v[14:15], v[18:19] neg_lo:[0,0,1] neg_hi:[0,0,1]
	v_pk_fma_f32 v[10:11], v[10:11], v[12:13], v[16:17]
	s_delay_alu instid0(VALU_DEP_3) | instskip(SKIP_1) | instid1(VALU_DEP_1)
	v_dual_mov_b32 v11, v21 :: v_dual_mov_b32 v19, v23
	s_wait_loadcnt 0x0
	v_pk_fma_f32 v[10:11], v[0:1], v[14:15], v[10:11] op_sel_hi:[0,1,1] neg_lo:[0,0,1] neg_hi:[0,0,1]
	s_delay_alu instid0(VALU_DEP_2)
	v_pk_fma_f32 v[12:13], v[0:1], v[12:13], v[18:19] op_sel_hi:[0,1,1]
	flat_store_b64 v[8:9], v[10:11]
	flat_store_b64 v[6:7], v[12:13]
	s_branch .LBB30_2
.LBB30_5:
	s_endpgm
	.section	.rodata,"a",@progbits
	.p2align	6, 0x0
	.amdhsa_kernel _ZL18rocblas_rot_kernelIiLi512E19rocblas_complex_numIfEPKPS1_S4_PKfPKS1_EviT2_lllT3_lllT4_lT5_li
		.amdhsa_group_segment_fixed_size 0
		.amdhsa_private_segment_fixed_size 0
		.amdhsa_kernarg_size 368
		.amdhsa_user_sgpr_count 2
		.amdhsa_user_sgpr_dispatch_ptr 0
		.amdhsa_user_sgpr_queue_ptr 0
		.amdhsa_user_sgpr_kernarg_segment_ptr 1
		.amdhsa_user_sgpr_dispatch_id 0
		.amdhsa_user_sgpr_kernarg_preload_length 0
		.amdhsa_user_sgpr_kernarg_preload_offset 0
		.amdhsa_user_sgpr_private_segment_size 0
		.amdhsa_wavefront_size32 1
		.amdhsa_uses_dynamic_stack 0
		.amdhsa_enable_private_segment 0
		.amdhsa_system_sgpr_workgroup_id_x 1
		.amdhsa_system_sgpr_workgroup_id_y 0
		.amdhsa_system_sgpr_workgroup_id_z 1
		.amdhsa_system_sgpr_workgroup_info 0
		.amdhsa_system_vgpr_workitem_id 0
		.amdhsa_next_free_vgpr 24
		.amdhsa_next_free_sgpr 28
		.amdhsa_named_barrier_count 0
		.amdhsa_reserve_vcc 1
		.amdhsa_float_round_mode_32 0
		.amdhsa_float_round_mode_16_64 0
		.amdhsa_float_denorm_mode_32 3
		.amdhsa_float_denorm_mode_16_64 3
		.amdhsa_fp16_overflow 0
		.amdhsa_memory_ordered 1
		.amdhsa_forward_progress 1
		.amdhsa_inst_pref_size 5
		.amdhsa_round_robin_scheduling 0
		.amdhsa_exception_fp_ieee_invalid_op 0
		.amdhsa_exception_fp_denorm_src 0
		.amdhsa_exception_fp_ieee_div_zero 0
		.amdhsa_exception_fp_ieee_overflow 0
		.amdhsa_exception_fp_ieee_underflow 0
		.amdhsa_exception_fp_ieee_inexact 0
		.amdhsa_exception_int_div_zero 0
	.end_amdhsa_kernel
	.section	.text._ZL18rocblas_rot_kernelIiLi512E19rocblas_complex_numIfEPKPS1_S4_PKfPKS1_EviT2_lllT3_lllT4_lT5_li,"axG",@progbits,_ZL18rocblas_rot_kernelIiLi512E19rocblas_complex_numIfEPKPS1_S4_PKfPKS1_EviT2_lllT3_lllT4_lT5_li,comdat
.Lfunc_end30:
	.size	_ZL18rocblas_rot_kernelIiLi512E19rocblas_complex_numIfEPKPS1_S4_PKfPKS1_EviT2_lllT3_lllT4_lT5_li, .Lfunc_end30-_ZL18rocblas_rot_kernelIiLi512E19rocblas_complex_numIfEPKPS1_S4_PKfPKS1_EviT2_lllT3_lllT4_lT5_li
                                        ; -- End function
	.set _ZL18rocblas_rot_kernelIiLi512E19rocblas_complex_numIfEPKPS1_S4_PKfPKS1_EviT2_lllT3_lllT4_lT5_li.num_vgpr, 24
	.set _ZL18rocblas_rot_kernelIiLi512E19rocblas_complex_numIfEPKPS1_S4_PKfPKS1_EviT2_lllT3_lllT4_lT5_li.num_agpr, 0
	.set _ZL18rocblas_rot_kernelIiLi512E19rocblas_complex_numIfEPKPS1_S4_PKfPKS1_EviT2_lllT3_lllT4_lT5_li.numbered_sgpr, 28
	.set _ZL18rocblas_rot_kernelIiLi512E19rocblas_complex_numIfEPKPS1_S4_PKfPKS1_EviT2_lllT3_lllT4_lT5_li.num_named_barrier, 0
	.set _ZL18rocblas_rot_kernelIiLi512E19rocblas_complex_numIfEPKPS1_S4_PKfPKS1_EviT2_lllT3_lllT4_lT5_li.private_seg_size, 0
	.set _ZL18rocblas_rot_kernelIiLi512E19rocblas_complex_numIfEPKPS1_S4_PKfPKS1_EviT2_lllT3_lllT4_lT5_li.uses_vcc, 1
	.set _ZL18rocblas_rot_kernelIiLi512E19rocblas_complex_numIfEPKPS1_S4_PKfPKS1_EviT2_lllT3_lllT4_lT5_li.uses_flat_scratch, 0
	.set _ZL18rocblas_rot_kernelIiLi512E19rocblas_complex_numIfEPKPS1_S4_PKfPKS1_EviT2_lllT3_lllT4_lT5_li.has_dyn_sized_stack, 0
	.set _ZL18rocblas_rot_kernelIiLi512E19rocblas_complex_numIfEPKPS1_S4_PKfPKS1_EviT2_lllT3_lllT4_lT5_li.has_recursion, 0
	.set _ZL18rocblas_rot_kernelIiLi512E19rocblas_complex_numIfEPKPS1_S4_PKfPKS1_EviT2_lllT3_lllT4_lT5_li.has_indirect_call, 0
	.section	.AMDGPU.csdata,"",@progbits
; Kernel info:
; codeLenInByte = 524
; TotalNumSgprs: 30
; NumVgprs: 24
; ScratchSize: 0
; MemoryBound: 0
; FloatMode: 240
; IeeeMode: 1
; LDSByteSize: 0 bytes/workgroup (compile time only)
; SGPRBlocks: 0
; VGPRBlocks: 1
; NumSGPRsForWavesPerEU: 30
; NumVGPRsForWavesPerEU: 24
; NamedBarCnt: 0
; Occupancy: 16
; WaveLimiterHint : 1
; COMPUTE_PGM_RSRC2:SCRATCH_EN: 0
; COMPUTE_PGM_RSRC2:USER_SGPR: 2
; COMPUTE_PGM_RSRC2:TRAP_HANDLER: 0
; COMPUTE_PGM_RSRC2:TGID_X_EN: 1
; COMPUTE_PGM_RSRC2:TGID_Y_EN: 0
; COMPUTE_PGM_RSRC2:TGID_Z_EN: 1
; COMPUTE_PGM_RSRC2:TIDIG_COMP_CNT: 0
	.section	.text._ZL18rocblas_rot_kernelIiLi512E19rocblas_complex_numIfEPKPS1_S4_fS1_EviT2_lllT3_lllT4_lT5_li,"axG",@progbits,_ZL18rocblas_rot_kernelIiLi512E19rocblas_complex_numIfEPKPS1_S4_fS1_EviT2_lllT3_lllT4_lT5_li,comdat
	.globl	_ZL18rocblas_rot_kernelIiLi512E19rocblas_complex_numIfEPKPS1_S4_fS1_EviT2_lllT3_lllT4_lT5_li ; -- Begin function _ZL18rocblas_rot_kernelIiLi512E19rocblas_complex_numIfEPKPS1_S4_fS1_EviT2_lllT3_lllT4_lT5_li
	.p2align	8
	.type	_ZL18rocblas_rot_kernelIiLi512E19rocblas_complex_numIfEPKPS1_S4_fS1_EviT2_lllT3_lllT4_lT5_li,@function
_ZL18rocblas_rot_kernelIiLi512E19rocblas_complex_numIfEPKPS1_S4_fS1_EviT2_lllT3_lllT4_lT5_li: ; @_ZL18rocblas_rot_kernelIiLi512E19rocblas_complex_numIfEPKPS1_S4_fS1_EviT2_lllT3_lllT4_lT5_li
; %bb.0:
	s_load_b32 s18, s[0:1], 0x68
	s_bfe_u32 s2, ttmp6, 0x40014
	s_lshr_b32 s3, ttmp7, 16
	s_add_co_i32 s2, s2, 1
	s_bfe_u32 s5, ttmp6, 0x40008
	s_mul_i32 s4, s3, s2
	s_getreg_b32 s2, hwreg(HW_REG_IB_STS2, 6, 4)
	s_add_co_i32 s5, s5, s4
	s_cmp_eq_u32 s2, 0
	s_cselect_b32 s19, s3, s5
	s_wait_kmcnt 0x0
	s_cmp_ge_u32 s19, s18
	s_cbranch_scc1 .LBB31_5
; %bb.1:
	s_clause 0x2
	s_load_b32 s14, s[0:1], 0x0
	s_load_b32 s3, s[0:1], 0x7c
	s_load_b128 s[4:7], s[0:1], 0x8
	s_bfe_u32 s8, ttmp6, 0x4000c
	s_clause 0x1
	s_load_b64 s[16:17], s[0:1], 0x18
	s_load_b64 s[20:21], s[0:1], 0x38
	s_add_co_i32 s8, s8, 1
	s_and_b32 s9, ttmp6, 15
	s_mul_i32 s8, ttmp9, s8
	v_mov_b32_e32 v5, 0
	s_add_co_i32 s9, s9, s8
	s_wait_kmcnt 0x0
	s_ashr_i32 s15, s14, 31
	s_and_b32 s3, s3, 0xffff
	s_cmp_eq_u32 s2, 0
	s_cselect_b32 s2, ttmp9, s9
	s_lshl_b64 s[6:7], s[6:7], 3
	v_mad_u32 v4, s2, s3, v0
	s_clause 0x2
	s_load_b32 s2, s[0:1], 0x48
	s_load_b64 s[12:13], s[0:1], 0x58
	s_load_b128 s[8:11], s[0:1], 0x28
	s_delay_alu instid0(VALU_DEP_1)
	v_mul_u64_e32 v[0:1], s[16:17], v[4:5]
	v_mul_u64_e32 v[2:3], s[20:21], v[4:5]
	v_cmp_gt_i64_e32 vcc_lo, s[14:15], v[4:5]
	s_wait_kmcnt 0x0
	s_mov_b32 s3, s2
	s_mov_b32 s0, s12
	;; [unrolled: 1-line block ×7, first 2 shown]
	s_lshl_b64 s[10:11], s[10:11], 3
	s_branch .LBB31_3
.LBB31_2:                               ;   in Loop: Header=BB31_3 Depth=1
	s_wait_xcnt 0x0
	s_or_b32 exec_lo, exec_lo, s20
	s_add_co_i32 s19, s19, 0x10000
	s_delay_alu instid0(SALU_CYCLE_1)
	s_cmp_lt_u32 s19, s18
	s_cbranch_scc0 .LBB31_5
.LBB31_3:                               ; =>This Inner Loop Header: Depth=1
	s_and_saveexec_b32 s20, vcc_lo
	s_cbranch_execz .LBB31_2
; %bb.4:                                ;   in Loop: Header=BB31_3 Depth=1
	s_load_b64 s[22:23], s[4:5], s19 offset:0x0 scale_offset
	s_load_b64 s[24:25], s[8:9], s19 offset:0x0 scale_offset
	v_mov_b64_e32 v[12:13], s[14:15]
	v_mov_b64_e32 v[14:15], s[16:17]
	;; [unrolled: 1-line block ×5, first 2 shown]
	s_wait_kmcnt 0x0
	s_add_nc_u64 s[22:23], s[22:23], s[6:7]
	s_add_nc_u64 s[24:25], s[24:25], s[10:11]
	v_lshl_add_u64 v[4:5], v[0:1], 3, s[22:23]
	v_lshl_add_u64 v[6:7], v[2:3], 3, s[24:25]
	flat_load_b64 v[8:9], v[4:5]
	flat_load_b64 v[10:11], v[6:7]
	s_wait_loadcnt_dscnt 0x101
	v_pk_mul_f32 v[12:13], v[12:13], v[8:9] op_sel:[0,1] op_sel_hi:[1,0]
	s_wait_loadcnt_dscnt 0x0
	v_pk_mul_f32 v[14:15], v[14:15], v[10:11] op_sel:[0,1]
	s_delay_alu instid0(VALU_DEP_2) | instskip(NEXT) | instid1(VALU_DEP_2)
	v_pk_fma_f32 v[20:21], v[16:17], v[8:9], v[12:13] neg_lo:[0,0,1] neg_hi:[0,0,1]
	v_pk_fma_f32 v[22:23], v[18:19], v[10:11], v[14:15] op_sel_hi:[1,0,1]
	v_pk_fma_f32 v[12:13], v[16:17], v[8:9], v[12:13]
	v_pk_fma_f32 v[14:15], v[18:19], v[10:11], v[14:15] neg_lo:[0,0,1] neg_hi:[0,0,1]
	s_delay_alu instid0(VALU_DEP_3) | instskip(NEXT) | instid1(VALU_DEP_1)
	v_dual_mov_b32 v13, v21 :: v_dual_mov_b32 v15, v23
	v_pk_fma_f32 v[10:11], v[24:25], v[10:11], v[12:13] neg_lo:[0,0,1] neg_hi:[0,0,1]
	s_delay_alu instid0(VALU_DEP_2)
	v_pk_fma_f32 v[8:9], v[24:25], v[8:9], v[14:15]
	flat_store_b64 v[6:7], v[10:11]
	flat_store_b64 v[4:5], v[8:9]
	s_branch .LBB31_2
.LBB31_5:
	s_endpgm
	.section	.rodata,"a",@progbits
	.p2align	6, 0x0
	.amdhsa_kernel _ZL18rocblas_rot_kernelIiLi512E19rocblas_complex_numIfEPKPS1_S4_fS1_EviT2_lllT3_lllT4_lT5_li
		.amdhsa_group_segment_fixed_size 0
		.amdhsa_private_segment_fixed_size 0
		.amdhsa_kernarg_size 368
		.amdhsa_user_sgpr_count 2
		.amdhsa_user_sgpr_dispatch_ptr 0
		.amdhsa_user_sgpr_queue_ptr 0
		.amdhsa_user_sgpr_kernarg_segment_ptr 1
		.amdhsa_user_sgpr_dispatch_id 0
		.amdhsa_user_sgpr_kernarg_preload_length 0
		.amdhsa_user_sgpr_kernarg_preload_offset 0
		.amdhsa_user_sgpr_private_segment_size 0
		.amdhsa_wavefront_size32 1
		.amdhsa_uses_dynamic_stack 0
		.amdhsa_enable_private_segment 0
		.amdhsa_system_sgpr_workgroup_id_x 1
		.amdhsa_system_sgpr_workgroup_id_y 0
		.amdhsa_system_sgpr_workgroup_id_z 1
		.amdhsa_system_sgpr_workgroup_info 0
		.amdhsa_system_vgpr_workitem_id 0
		.amdhsa_next_free_vgpr 26
		.amdhsa_next_free_sgpr 26
		.amdhsa_named_barrier_count 0
		.amdhsa_reserve_vcc 1
		.amdhsa_float_round_mode_32 0
		.amdhsa_float_round_mode_16_64 0
		.amdhsa_float_denorm_mode_32 3
		.amdhsa_float_denorm_mode_16_64 3
		.amdhsa_fp16_overflow 0
		.amdhsa_memory_ordered 1
		.amdhsa_forward_progress 1
		.amdhsa_inst_pref_size 4
		.amdhsa_round_robin_scheduling 0
		.amdhsa_exception_fp_ieee_invalid_op 0
		.amdhsa_exception_fp_denorm_src 0
		.amdhsa_exception_fp_ieee_div_zero 0
		.amdhsa_exception_fp_ieee_overflow 0
		.amdhsa_exception_fp_ieee_underflow 0
		.amdhsa_exception_fp_ieee_inexact 0
		.amdhsa_exception_int_div_zero 0
	.end_amdhsa_kernel
	.section	.text._ZL18rocblas_rot_kernelIiLi512E19rocblas_complex_numIfEPKPS1_S4_fS1_EviT2_lllT3_lllT4_lT5_li,"axG",@progbits,_ZL18rocblas_rot_kernelIiLi512E19rocblas_complex_numIfEPKPS1_S4_fS1_EviT2_lllT3_lllT4_lT5_li,comdat
.Lfunc_end31:
	.size	_ZL18rocblas_rot_kernelIiLi512E19rocblas_complex_numIfEPKPS1_S4_fS1_EviT2_lllT3_lllT4_lT5_li, .Lfunc_end31-_ZL18rocblas_rot_kernelIiLi512E19rocblas_complex_numIfEPKPS1_S4_fS1_EviT2_lllT3_lllT4_lT5_li
                                        ; -- End function
	.set _ZL18rocblas_rot_kernelIiLi512E19rocblas_complex_numIfEPKPS1_S4_fS1_EviT2_lllT3_lllT4_lT5_li.num_vgpr, 26
	.set _ZL18rocblas_rot_kernelIiLi512E19rocblas_complex_numIfEPKPS1_S4_fS1_EviT2_lllT3_lllT4_lT5_li.num_agpr, 0
	.set _ZL18rocblas_rot_kernelIiLi512E19rocblas_complex_numIfEPKPS1_S4_fS1_EviT2_lllT3_lllT4_lT5_li.numbered_sgpr, 26
	.set _ZL18rocblas_rot_kernelIiLi512E19rocblas_complex_numIfEPKPS1_S4_fS1_EviT2_lllT3_lllT4_lT5_li.num_named_barrier, 0
	.set _ZL18rocblas_rot_kernelIiLi512E19rocblas_complex_numIfEPKPS1_S4_fS1_EviT2_lllT3_lllT4_lT5_li.private_seg_size, 0
	.set _ZL18rocblas_rot_kernelIiLi512E19rocblas_complex_numIfEPKPS1_S4_fS1_EviT2_lllT3_lllT4_lT5_li.uses_vcc, 1
	.set _ZL18rocblas_rot_kernelIiLi512E19rocblas_complex_numIfEPKPS1_S4_fS1_EviT2_lllT3_lllT4_lT5_li.uses_flat_scratch, 0
	.set _ZL18rocblas_rot_kernelIiLi512E19rocblas_complex_numIfEPKPS1_S4_fS1_EviT2_lllT3_lllT4_lT5_li.has_dyn_sized_stack, 0
	.set _ZL18rocblas_rot_kernelIiLi512E19rocblas_complex_numIfEPKPS1_S4_fS1_EviT2_lllT3_lllT4_lT5_li.has_recursion, 0
	.set _ZL18rocblas_rot_kernelIiLi512E19rocblas_complex_numIfEPKPS1_S4_fS1_EviT2_lllT3_lllT4_lT5_li.has_indirect_call, 0
	.section	.AMDGPU.csdata,"",@progbits
; Kernel info:
; codeLenInByte = 512
; TotalNumSgprs: 28
; NumVgprs: 26
; ScratchSize: 0
; MemoryBound: 0
; FloatMode: 240
; IeeeMode: 1
; LDSByteSize: 0 bytes/workgroup (compile time only)
; SGPRBlocks: 0
; VGPRBlocks: 1
; NumSGPRsForWavesPerEU: 28
; NumVGPRsForWavesPerEU: 26
; NamedBarCnt: 0
; Occupancy: 16
; WaveLimiterHint : 1
; COMPUTE_PGM_RSRC2:SCRATCH_EN: 0
; COMPUTE_PGM_RSRC2:USER_SGPR: 2
; COMPUTE_PGM_RSRC2:TRAP_HANDLER: 0
; COMPUTE_PGM_RSRC2:TGID_X_EN: 1
; COMPUTE_PGM_RSRC2:TGID_Y_EN: 0
; COMPUTE_PGM_RSRC2:TGID_Z_EN: 1
; COMPUTE_PGM_RSRC2:TIDIG_COMP_CNT: 0
	.section	.text._ZL18rocblas_rot_kernelIiLi512E19rocblas_complex_numIfEPKPS1_S4_PKS1_S6_EviT2_lllT3_lllT4_lT5_li,"axG",@progbits,_ZL18rocblas_rot_kernelIiLi512E19rocblas_complex_numIfEPKPS1_S4_PKS1_S6_EviT2_lllT3_lllT4_lT5_li,comdat
	.globl	_ZL18rocblas_rot_kernelIiLi512E19rocblas_complex_numIfEPKPS1_S4_PKS1_S6_EviT2_lllT3_lllT4_lT5_li ; -- Begin function _ZL18rocblas_rot_kernelIiLi512E19rocblas_complex_numIfEPKPS1_S4_PKS1_S6_EviT2_lllT3_lllT4_lT5_li
	.p2align	8
	.type	_ZL18rocblas_rot_kernelIiLi512E19rocblas_complex_numIfEPKPS1_S4_PKS1_S6_EviT2_lllT3_lllT4_lT5_li,@function
_ZL18rocblas_rot_kernelIiLi512E19rocblas_complex_numIfEPKPS1_S4_PKS1_S6_EviT2_lllT3_lllT4_lT5_li: ; @_ZL18rocblas_rot_kernelIiLi512E19rocblas_complex_numIfEPKPS1_S4_PKS1_S6_EviT2_lllT3_lllT4_lT5_li
; %bb.0:
	s_load_b32 s20, s[0:1], 0x68
	s_bfe_u32 s2, ttmp6, 0x40014
	s_lshr_b32 s3, ttmp7, 16
	s_add_co_i32 s2, s2, 1
	s_bfe_u32 s5, ttmp6, 0x40008
	s_mul_i32 s2, s3, s2
	s_getreg_b32 s4, hwreg(HW_REG_IB_STS2, 6, 4)
	s_add_co_i32 s5, s5, s2
	s_cmp_eq_u32 s4, 0
	s_cselect_b32 s2, s3, s5
	s_mov_b32 s3, 0
	s_wait_kmcnt 0x0
	s_cmp_ge_u32 s2, s20
	s_cbranch_scc1 .LBB32_5
; %bb.1:
	s_clause 0x2
	s_load_b32 s22, s[0:1], 0x0
	s_load_b32 s5, s[0:1], 0x7c
	s_load_b128 s[12:15], s[0:1], 0x8
	s_bfe_u32 s8, ttmp6, 0x4000c
	s_clause 0x1
	s_load_b64 s[6:7], s[0:1], 0x18
	s_load_b128 s[16:19], s[0:1], 0x28
	s_add_co_i32 s8, s8, 1
	s_and_b32 s10, ttmp6, 15
	s_mul_i32 s11, ttmp9, s8
	s_load_b64 s[8:9], s[0:1], 0x38
	s_add_co_i32 s10, s10, s11
	v_mov_b32_e32 v1, 0
	s_wait_kmcnt 0x0
	s_ashr_i32 s23, s22, 31
	s_and_b32 s5, s5, 0xffff
	s_cmp_eq_u32 s4, 0
	s_cselect_b32 s4, ttmp9, s10
	s_lshl_b64 s[14:15], s[14:15], 3
	v_mad_u32 v0, s4, s5, v0
	s_delay_alu instid0(VALU_DEP_1)
	v_mul_u64_e32 v[2:3], s[6:7], v[0:1]
	v_mul_u64_e32 v[4:5], s[8:9], v[0:1]
	s_load_b256 s[4:11], s[0:1], 0x48
	s_wait_xcnt 0x0
	s_lshl_b64 s[0:1], s[18:19], 3
	v_cmp_gt_i64_e32 vcc_lo, s[22:23], v[0:1]
	s_branch .LBB32_3
.LBB32_2:                               ;   in Loop: Header=BB32_3 Depth=1
	s_wait_xcnt 0x0
	s_or_b32 exec_lo, exec_lo, s18
	s_add_co_i32 s2, s2, 0x10000
	s_delay_alu instid0(SALU_CYCLE_1)
	s_cmp_lt_u32 s2, s20
	s_cbranch_scc0 .LBB32_5
.LBB32_3:                               ; =>This Inner Loop Header: Depth=1
	s_and_saveexec_b32 s18, vcc_lo
	s_cbranch_execz .LBB32_2
; %bb.4:                                ;   in Loop: Header=BB32_3 Depth=1
	s_load_b64 s[22:23], s[12:13], s2 offset:0x0 scale_offset
	s_load_b64 s[24:25], s[16:17], s2 offset:0x0 scale_offset
	s_wait_kmcnt 0x0
	s_mul_u64 s[26:27], s[10:11], s[2:3]
	s_delay_alu instid0(SALU_CYCLE_1) | instskip(SKIP_2) | instid1(VALU_DEP_3)
	s_lshl_b64 s[26:27], s[26:27], 3
	s_add_nc_u64 s[22:23], s[22:23], s[14:15]
	s_add_nc_u64 s[24:25], s[24:25], s[0:1]
	v_lshl_add_u64 v[6:7], v[2:3], 3, s[22:23]
	s_delay_alu instid0(VALU_DEP_3)
	v_lshl_add_u64 v[8:9], v[4:5], 3, s[24:25]
	s_add_nc_u64 s[22:23], s[8:9], s[26:27]
	global_load_b64 v[10:11], v1, s[22:23]
	flat_load_b64 v[12:13], v[6:7]
	flat_load_b64 v[14:15], v[8:9]
	s_wait_xcnt 0x2
	s_mul_u64 s[22:23], s[6:7], s[2:3]
	s_delay_alu instid0(SALU_CYCLE_1) | instskip(NEXT) | instid1(SALU_CYCLE_1)
	s_lshl_b64 s[22:23], s[22:23], 3
	s_add_nc_u64 s[22:23], s[4:5], s[22:23]
	global_load_b32 v0, v1, s[22:23]
	s_wait_loadcnt_dscnt 0x201
	v_pk_mul_f32 v[16:17], v[10:11], v[12:13] op_sel:[1,1] op_sel_hi:[1,0]
	s_wait_loadcnt_dscnt 0x100
	v_pk_mul_f32 v[18:19], v[10:11], v[14:15] op_sel:[1,1] op_sel_hi:[0,1]
	s_delay_alu instid0(VALU_DEP_2) | instskip(NEXT) | instid1(VALU_DEP_2)
	v_pk_fma_f32 v[20:21], v[10:11], v[12:13], v[16:17] op_sel_hi:[0,1,1] neg_lo:[0,0,1] neg_hi:[0,0,1]
	v_pk_fma_f32 v[22:23], v[10:11], v[14:15], v[18:19] op_sel_hi:[1,0,1]
	v_pk_fma_f32 v[18:19], v[10:11], v[14:15], v[18:19] neg_lo:[0,0,1] neg_hi:[0,0,1]
	v_pk_fma_f32 v[10:11], v[10:11], v[12:13], v[16:17]
	s_delay_alu instid0(VALU_DEP_3) | instskip(SKIP_1) | instid1(VALU_DEP_1)
	v_dual_mov_b32 v11, v21 :: v_dual_mov_b32 v19, v23
	s_wait_loadcnt 0x0
	v_pk_fma_f32 v[10:11], v[0:1], v[14:15], v[10:11] op_sel_hi:[0,1,1] neg_lo:[0,0,1] neg_hi:[0,0,1]
	s_delay_alu instid0(VALU_DEP_2)
	v_pk_fma_f32 v[12:13], v[0:1], v[12:13], v[18:19] op_sel_hi:[0,1,1]
	flat_store_b64 v[8:9], v[10:11]
	flat_store_b64 v[6:7], v[12:13]
	s_branch .LBB32_2
.LBB32_5:
	s_endpgm
	.section	.rodata,"a",@progbits
	.p2align	6, 0x0
	.amdhsa_kernel _ZL18rocblas_rot_kernelIiLi512E19rocblas_complex_numIfEPKPS1_S4_PKS1_S6_EviT2_lllT3_lllT4_lT5_li
		.amdhsa_group_segment_fixed_size 0
		.amdhsa_private_segment_fixed_size 0
		.amdhsa_kernarg_size 368
		.amdhsa_user_sgpr_count 2
		.amdhsa_user_sgpr_dispatch_ptr 0
		.amdhsa_user_sgpr_queue_ptr 0
		.amdhsa_user_sgpr_kernarg_segment_ptr 1
		.amdhsa_user_sgpr_dispatch_id 0
		.amdhsa_user_sgpr_kernarg_preload_length 0
		.amdhsa_user_sgpr_kernarg_preload_offset 0
		.amdhsa_user_sgpr_private_segment_size 0
		.amdhsa_wavefront_size32 1
		.amdhsa_uses_dynamic_stack 0
		.amdhsa_enable_private_segment 0
		.amdhsa_system_sgpr_workgroup_id_x 1
		.amdhsa_system_sgpr_workgroup_id_y 0
		.amdhsa_system_sgpr_workgroup_id_z 1
		.amdhsa_system_sgpr_workgroup_info 0
		.amdhsa_system_vgpr_workitem_id 0
		.amdhsa_next_free_vgpr 24
		.amdhsa_next_free_sgpr 28
		.amdhsa_named_barrier_count 0
		.amdhsa_reserve_vcc 1
		.amdhsa_float_round_mode_32 0
		.amdhsa_float_round_mode_16_64 0
		.amdhsa_float_denorm_mode_32 3
		.amdhsa_float_denorm_mode_16_64 3
		.amdhsa_fp16_overflow 0
		.amdhsa_memory_ordered 1
		.amdhsa_forward_progress 1
		.amdhsa_inst_pref_size 5
		.amdhsa_round_robin_scheduling 0
		.amdhsa_exception_fp_ieee_invalid_op 0
		.amdhsa_exception_fp_denorm_src 0
		.amdhsa_exception_fp_ieee_div_zero 0
		.amdhsa_exception_fp_ieee_overflow 0
		.amdhsa_exception_fp_ieee_underflow 0
		.amdhsa_exception_fp_ieee_inexact 0
		.amdhsa_exception_int_div_zero 0
	.end_amdhsa_kernel
	.section	.text._ZL18rocblas_rot_kernelIiLi512E19rocblas_complex_numIfEPKPS1_S4_PKS1_S6_EviT2_lllT3_lllT4_lT5_li,"axG",@progbits,_ZL18rocblas_rot_kernelIiLi512E19rocblas_complex_numIfEPKPS1_S4_PKS1_S6_EviT2_lllT3_lllT4_lT5_li,comdat
.Lfunc_end32:
	.size	_ZL18rocblas_rot_kernelIiLi512E19rocblas_complex_numIfEPKPS1_S4_PKS1_S6_EviT2_lllT3_lllT4_lT5_li, .Lfunc_end32-_ZL18rocblas_rot_kernelIiLi512E19rocblas_complex_numIfEPKPS1_S4_PKS1_S6_EviT2_lllT3_lllT4_lT5_li
                                        ; -- End function
	.set _ZL18rocblas_rot_kernelIiLi512E19rocblas_complex_numIfEPKPS1_S4_PKS1_S6_EviT2_lllT3_lllT4_lT5_li.num_vgpr, 24
	.set _ZL18rocblas_rot_kernelIiLi512E19rocblas_complex_numIfEPKPS1_S4_PKS1_S6_EviT2_lllT3_lllT4_lT5_li.num_agpr, 0
	.set _ZL18rocblas_rot_kernelIiLi512E19rocblas_complex_numIfEPKPS1_S4_PKS1_S6_EviT2_lllT3_lllT4_lT5_li.numbered_sgpr, 28
	.set _ZL18rocblas_rot_kernelIiLi512E19rocblas_complex_numIfEPKPS1_S4_PKS1_S6_EviT2_lllT3_lllT4_lT5_li.num_named_barrier, 0
	.set _ZL18rocblas_rot_kernelIiLi512E19rocblas_complex_numIfEPKPS1_S4_PKS1_S6_EviT2_lllT3_lllT4_lT5_li.private_seg_size, 0
	.set _ZL18rocblas_rot_kernelIiLi512E19rocblas_complex_numIfEPKPS1_S4_PKS1_S6_EviT2_lllT3_lllT4_lT5_li.uses_vcc, 1
	.set _ZL18rocblas_rot_kernelIiLi512E19rocblas_complex_numIfEPKPS1_S4_PKS1_S6_EviT2_lllT3_lllT4_lT5_li.uses_flat_scratch, 0
	.set _ZL18rocblas_rot_kernelIiLi512E19rocblas_complex_numIfEPKPS1_S4_PKS1_S6_EviT2_lllT3_lllT4_lT5_li.has_dyn_sized_stack, 0
	.set _ZL18rocblas_rot_kernelIiLi512E19rocblas_complex_numIfEPKPS1_S4_PKS1_S6_EviT2_lllT3_lllT4_lT5_li.has_recursion, 0
	.set _ZL18rocblas_rot_kernelIiLi512E19rocblas_complex_numIfEPKPS1_S4_PKS1_S6_EviT2_lllT3_lllT4_lT5_li.has_indirect_call, 0
	.section	.AMDGPU.csdata,"",@progbits
; Kernel info:
; codeLenInByte = 524
; TotalNumSgprs: 30
; NumVgprs: 24
; ScratchSize: 0
; MemoryBound: 0
; FloatMode: 240
; IeeeMode: 1
; LDSByteSize: 0 bytes/workgroup (compile time only)
; SGPRBlocks: 0
; VGPRBlocks: 1
; NumSGPRsForWavesPerEU: 30
; NumVGPRsForWavesPerEU: 24
; NamedBarCnt: 0
; Occupancy: 16
; WaveLimiterHint : 1
; COMPUTE_PGM_RSRC2:SCRATCH_EN: 0
; COMPUTE_PGM_RSRC2:USER_SGPR: 2
; COMPUTE_PGM_RSRC2:TRAP_HANDLER: 0
; COMPUTE_PGM_RSRC2:TGID_X_EN: 1
; COMPUTE_PGM_RSRC2:TGID_Y_EN: 0
; COMPUTE_PGM_RSRC2:TGID_Z_EN: 1
; COMPUTE_PGM_RSRC2:TIDIG_COMP_CNT: 0
	.section	.text._ZL18rocblas_rot_kernelIiLi512E19rocblas_complex_numIfEPKPS1_S4_S1_S1_EviT2_lllT3_lllT4_lT5_li,"axG",@progbits,_ZL18rocblas_rot_kernelIiLi512E19rocblas_complex_numIfEPKPS1_S4_S1_S1_EviT2_lllT3_lllT4_lT5_li,comdat
	.globl	_ZL18rocblas_rot_kernelIiLi512E19rocblas_complex_numIfEPKPS1_S4_S1_S1_EviT2_lllT3_lllT4_lT5_li ; -- Begin function _ZL18rocblas_rot_kernelIiLi512E19rocblas_complex_numIfEPKPS1_S4_S1_S1_EviT2_lllT3_lllT4_lT5_li
	.p2align	8
	.type	_ZL18rocblas_rot_kernelIiLi512E19rocblas_complex_numIfEPKPS1_S4_S1_S1_EviT2_lllT3_lllT4_lT5_li,@function
_ZL18rocblas_rot_kernelIiLi512E19rocblas_complex_numIfEPKPS1_S4_S1_S1_EviT2_lllT3_lllT4_lT5_li: ; @_ZL18rocblas_rot_kernelIiLi512E19rocblas_complex_numIfEPKPS1_S4_S1_S1_EviT2_lllT3_lllT4_lT5_li
; %bb.0:
	s_load_b32 s18, s[0:1], 0x68
	s_bfe_u32 s2, ttmp6, 0x40014
	s_lshr_b32 s3, ttmp7, 16
	s_add_co_i32 s2, s2, 1
	s_bfe_u32 s5, ttmp6, 0x40008
	s_mul_i32 s4, s3, s2
	s_getreg_b32 s2, hwreg(HW_REG_IB_STS2, 6, 4)
	s_add_co_i32 s5, s5, s4
	s_cmp_eq_u32 s2, 0
	s_cselect_b32 s19, s3, s5
	s_wait_kmcnt 0x0
	s_cmp_ge_u32 s19, s18
	s_cbranch_scc1 .LBB33_5
; %bb.1:
	s_clause 0x2
	s_load_b32 s14, s[0:1], 0x0
	s_load_b32 s3, s[0:1], 0x7c
	s_load_b128 s[4:7], s[0:1], 0x8
	s_bfe_u32 s8, ttmp6, 0x4000c
	s_clause 0x1
	s_load_b64 s[12:13], s[0:1], 0x18
	s_load_b64 s[16:17], s[0:1], 0x38
	s_add_co_i32 s8, s8, 1
	s_and_b32 s9, ttmp6, 15
	s_mul_i32 s8, ttmp9, s8
	v_mov_b32_e32 v5, 0
	s_add_co_i32 s9, s9, s8
	s_wait_kmcnt 0x0
	s_ashr_i32 s15, s14, 31
	s_and_b32 s3, s3, 0xffff
	s_cmp_eq_u32 s2, 0
	s_cselect_b32 s2, ttmp9, s9
	s_lshl_b64 s[6:7], s[6:7], 3
	v_mad_u32 v4, s2, s3, v0
	s_clause 0x1
	s_load_b128 s[8:11], s[0:1], 0x28
	s_load_b32 s2, s[0:1], 0x48
	s_delay_alu instid0(VALU_DEP_1)
	v_mul_u64_e32 v[0:1], s[12:13], v[4:5]
	v_mul_u64_e32 v[2:3], s[16:17], v[4:5]
	s_load_b64 s[12:13], s[0:1], 0x58
	v_cmp_gt_i64_e32 vcc_lo, s[14:15], v[4:5]
	s_wait_kmcnt 0x0
	s_lshl_b64 s[10:11], s[10:11], 3
	s_mov_b32 s3, s2
	s_mov_b32 s0, s12
	;; [unrolled: 1-line block ×7, first 2 shown]
	s_branch .LBB33_3
.LBB33_2:                               ;   in Loop: Header=BB33_3 Depth=1
	s_wait_xcnt 0x0
	s_or_b32 exec_lo, exec_lo, s20
	s_add_co_i32 s19, s19, 0x10000
	s_delay_alu instid0(SALU_CYCLE_1)
	s_cmp_lt_u32 s19, s18
	s_cbranch_scc0 .LBB33_5
.LBB33_3:                               ; =>This Inner Loop Header: Depth=1
	s_and_saveexec_b32 s20, vcc_lo
	s_cbranch_execz .LBB33_2
; %bb.4:                                ;   in Loop: Header=BB33_3 Depth=1
	s_load_b64 s[22:23], s[4:5], s19 offset:0x0 scale_offset
	s_load_b64 s[24:25], s[8:9], s19 offset:0x0 scale_offset
	v_mov_b64_e32 v[12:13], s[14:15]
	v_mov_b64_e32 v[14:15], s[16:17]
	;; [unrolled: 1-line block ×5, first 2 shown]
	s_wait_kmcnt 0x0
	s_add_nc_u64 s[22:23], s[22:23], s[6:7]
	s_add_nc_u64 s[24:25], s[24:25], s[10:11]
	v_lshl_add_u64 v[4:5], v[0:1], 3, s[22:23]
	v_lshl_add_u64 v[6:7], v[2:3], 3, s[24:25]
	flat_load_b64 v[8:9], v[4:5]
	flat_load_b64 v[10:11], v[6:7]
	s_wait_loadcnt_dscnt 0x101
	v_pk_mul_f32 v[12:13], v[12:13], v[8:9] op_sel:[0,1] op_sel_hi:[1,0]
	s_wait_loadcnt_dscnt 0x0
	v_pk_mul_f32 v[14:15], v[14:15], v[10:11] op_sel:[0,1]
	s_delay_alu instid0(VALU_DEP_2) | instskip(NEXT) | instid1(VALU_DEP_2)
	v_pk_fma_f32 v[20:21], v[16:17], v[8:9], v[12:13] neg_lo:[0,0,1] neg_hi:[0,0,1]
	v_pk_fma_f32 v[22:23], v[18:19], v[10:11], v[14:15] op_sel_hi:[1,0,1]
	v_pk_fma_f32 v[12:13], v[16:17], v[8:9], v[12:13]
	v_pk_fma_f32 v[14:15], v[18:19], v[10:11], v[14:15] neg_lo:[0,0,1] neg_hi:[0,0,1]
	s_delay_alu instid0(VALU_DEP_3) | instskip(NEXT) | instid1(VALU_DEP_1)
	v_dual_mov_b32 v13, v21 :: v_dual_mov_b32 v15, v23
	v_pk_fma_f32 v[10:11], v[24:25], v[10:11], v[12:13] neg_lo:[0,0,1] neg_hi:[0,0,1]
	s_delay_alu instid0(VALU_DEP_2)
	v_pk_fma_f32 v[8:9], v[24:25], v[8:9], v[14:15]
	flat_store_b64 v[6:7], v[10:11]
	flat_store_b64 v[4:5], v[8:9]
	s_branch .LBB33_2
.LBB33_5:
	s_endpgm
	.section	.rodata,"a",@progbits
	.p2align	6, 0x0
	.amdhsa_kernel _ZL18rocblas_rot_kernelIiLi512E19rocblas_complex_numIfEPKPS1_S4_S1_S1_EviT2_lllT3_lllT4_lT5_li
		.amdhsa_group_segment_fixed_size 0
		.amdhsa_private_segment_fixed_size 0
		.amdhsa_kernarg_size 368
		.amdhsa_user_sgpr_count 2
		.amdhsa_user_sgpr_dispatch_ptr 0
		.amdhsa_user_sgpr_queue_ptr 0
		.amdhsa_user_sgpr_kernarg_segment_ptr 1
		.amdhsa_user_sgpr_dispatch_id 0
		.amdhsa_user_sgpr_kernarg_preload_length 0
		.amdhsa_user_sgpr_kernarg_preload_offset 0
		.amdhsa_user_sgpr_private_segment_size 0
		.amdhsa_wavefront_size32 1
		.amdhsa_uses_dynamic_stack 0
		.amdhsa_enable_private_segment 0
		.amdhsa_system_sgpr_workgroup_id_x 1
		.amdhsa_system_sgpr_workgroup_id_y 0
		.amdhsa_system_sgpr_workgroup_id_z 1
		.amdhsa_system_sgpr_workgroup_info 0
		.amdhsa_system_vgpr_workitem_id 0
		.amdhsa_next_free_vgpr 26
		.amdhsa_next_free_sgpr 26
		.amdhsa_named_barrier_count 0
		.amdhsa_reserve_vcc 1
		.amdhsa_float_round_mode_32 0
		.amdhsa_float_round_mode_16_64 0
		.amdhsa_float_denorm_mode_32 3
		.amdhsa_float_denorm_mode_16_64 3
		.amdhsa_fp16_overflow 0
		.amdhsa_memory_ordered 1
		.amdhsa_forward_progress 1
		.amdhsa_inst_pref_size 4
		.amdhsa_round_robin_scheduling 0
		.amdhsa_exception_fp_ieee_invalid_op 0
		.amdhsa_exception_fp_denorm_src 0
		.amdhsa_exception_fp_ieee_div_zero 0
		.amdhsa_exception_fp_ieee_overflow 0
		.amdhsa_exception_fp_ieee_underflow 0
		.amdhsa_exception_fp_ieee_inexact 0
		.amdhsa_exception_int_div_zero 0
	.end_amdhsa_kernel
	.section	.text._ZL18rocblas_rot_kernelIiLi512E19rocblas_complex_numIfEPKPS1_S4_S1_S1_EviT2_lllT3_lllT4_lT5_li,"axG",@progbits,_ZL18rocblas_rot_kernelIiLi512E19rocblas_complex_numIfEPKPS1_S4_S1_S1_EviT2_lllT3_lllT4_lT5_li,comdat
.Lfunc_end33:
	.size	_ZL18rocblas_rot_kernelIiLi512E19rocblas_complex_numIfEPKPS1_S4_S1_S1_EviT2_lllT3_lllT4_lT5_li, .Lfunc_end33-_ZL18rocblas_rot_kernelIiLi512E19rocblas_complex_numIfEPKPS1_S4_S1_S1_EviT2_lllT3_lllT4_lT5_li
                                        ; -- End function
	.set _ZL18rocblas_rot_kernelIiLi512E19rocblas_complex_numIfEPKPS1_S4_S1_S1_EviT2_lllT3_lllT4_lT5_li.num_vgpr, 26
	.set _ZL18rocblas_rot_kernelIiLi512E19rocblas_complex_numIfEPKPS1_S4_S1_S1_EviT2_lllT3_lllT4_lT5_li.num_agpr, 0
	.set _ZL18rocblas_rot_kernelIiLi512E19rocblas_complex_numIfEPKPS1_S4_S1_S1_EviT2_lllT3_lllT4_lT5_li.numbered_sgpr, 26
	.set _ZL18rocblas_rot_kernelIiLi512E19rocblas_complex_numIfEPKPS1_S4_S1_S1_EviT2_lllT3_lllT4_lT5_li.num_named_barrier, 0
	.set _ZL18rocblas_rot_kernelIiLi512E19rocblas_complex_numIfEPKPS1_S4_S1_S1_EviT2_lllT3_lllT4_lT5_li.private_seg_size, 0
	.set _ZL18rocblas_rot_kernelIiLi512E19rocblas_complex_numIfEPKPS1_S4_S1_S1_EviT2_lllT3_lllT4_lT5_li.uses_vcc, 1
	.set _ZL18rocblas_rot_kernelIiLi512E19rocblas_complex_numIfEPKPS1_S4_S1_S1_EviT2_lllT3_lllT4_lT5_li.uses_flat_scratch, 0
	.set _ZL18rocblas_rot_kernelIiLi512E19rocblas_complex_numIfEPKPS1_S4_S1_S1_EviT2_lllT3_lllT4_lT5_li.has_dyn_sized_stack, 0
	.set _ZL18rocblas_rot_kernelIiLi512E19rocblas_complex_numIfEPKPS1_S4_S1_S1_EviT2_lllT3_lllT4_lT5_li.has_recursion, 0
	.set _ZL18rocblas_rot_kernelIiLi512E19rocblas_complex_numIfEPKPS1_S4_S1_S1_EviT2_lllT3_lllT4_lT5_li.has_indirect_call, 0
	.section	.AMDGPU.csdata,"",@progbits
; Kernel info:
; codeLenInByte = 512
; TotalNumSgprs: 28
; NumVgprs: 26
; ScratchSize: 0
; MemoryBound: 0
; FloatMode: 240
; IeeeMode: 1
; LDSByteSize: 0 bytes/workgroup (compile time only)
; SGPRBlocks: 0
; VGPRBlocks: 1
; NumSGPRsForWavesPerEU: 28
; NumVGPRsForWavesPerEU: 26
; NamedBarCnt: 0
; Occupancy: 16
; WaveLimiterHint : 1
; COMPUTE_PGM_RSRC2:SCRATCH_EN: 0
; COMPUTE_PGM_RSRC2:USER_SGPR: 2
; COMPUTE_PGM_RSRC2:TRAP_HANDLER: 0
; COMPUTE_PGM_RSRC2:TGID_X_EN: 1
; COMPUTE_PGM_RSRC2:TGID_Y_EN: 0
; COMPUTE_PGM_RSRC2:TGID_Z_EN: 1
; COMPUTE_PGM_RSRC2:TIDIG_COMP_CNT: 0
	.section	.text._ZL18rocblas_rot_kernelIiLi512E19rocblas_complex_numIdEPKPS1_S4_PKS1_S6_EviT2_lllT3_lllT4_lT5_li,"axG",@progbits,_ZL18rocblas_rot_kernelIiLi512E19rocblas_complex_numIdEPKPS1_S4_PKS1_S6_EviT2_lllT3_lllT4_lT5_li,comdat
	.globl	_ZL18rocblas_rot_kernelIiLi512E19rocblas_complex_numIdEPKPS1_S4_PKS1_S6_EviT2_lllT3_lllT4_lT5_li ; -- Begin function _ZL18rocblas_rot_kernelIiLi512E19rocblas_complex_numIdEPKPS1_S4_PKS1_S6_EviT2_lllT3_lllT4_lT5_li
	.p2align	8
	.type	_ZL18rocblas_rot_kernelIiLi512E19rocblas_complex_numIdEPKPS1_S4_PKS1_S6_EviT2_lllT3_lllT4_lT5_li,@function
_ZL18rocblas_rot_kernelIiLi512E19rocblas_complex_numIdEPKPS1_S4_PKS1_S6_EviT2_lllT3_lllT4_lT5_li: ; @_ZL18rocblas_rot_kernelIiLi512E19rocblas_complex_numIdEPKPS1_S4_PKS1_S6_EviT2_lllT3_lllT4_lT5_li
; %bb.0:
	s_load_b32 s20, s[0:1], 0x68
	s_bfe_u32 s2, ttmp6, 0x40014
	s_lshr_b32 s3, ttmp7, 16
	s_add_co_i32 s2, s2, 1
	s_bfe_u32 s5, ttmp6, 0x40008
	s_mul_i32 s2, s3, s2
	s_getreg_b32 s4, hwreg(HW_REG_IB_STS2, 6, 4)
	s_add_co_i32 s5, s5, s2
	s_cmp_eq_u32 s4, 0
	s_cselect_b32 s2, s3, s5
	s_mov_b32 s3, 0
	s_wait_kmcnt 0x0
	s_cmp_ge_u32 s2, s20
	s_cbranch_scc1 .LBB34_5
; %bb.1:
	s_clause 0x2
	s_load_b32 s22, s[0:1], 0x0
	s_load_b32 s5, s[0:1], 0x7c
	s_load_b128 s[12:15], s[0:1], 0x8
	s_bfe_u32 s8, ttmp6, 0x4000c
	s_clause 0x1
	s_load_b64 s[6:7], s[0:1], 0x18
	s_load_b128 s[16:19], s[0:1], 0x28
	s_add_co_i32 s8, s8, 1
	s_and_b32 s10, ttmp6, 15
	s_mul_i32 s11, ttmp9, s8
	s_load_b64 s[8:9], s[0:1], 0x38
	s_add_co_i32 s10, s10, s11
	v_mov_b32_e32 v1, 0
	s_wait_kmcnt 0x0
	s_ashr_i32 s23, s22, 31
	s_and_b32 s5, s5, 0xffff
	s_cmp_eq_u32 s4, 0
	s_cselect_b32 s4, ttmp9, s10
	s_lshl_b64 s[14:15], s[14:15], 4
	v_mad_u32 v0, s4, s5, v0
	s_delay_alu instid0(VALU_DEP_1)
	v_mul_u64_e32 v[2:3], s[6:7], v[0:1]
	v_mul_u64_e32 v[4:5], s[8:9], v[0:1]
	s_load_b256 s[4:11], s[0:1], 0x48
	s_wait_xcnt 0x0
	s_lshl_b64 s[0:1], s[18:19], 4
	v_cmp_gt_i64_e32 vcc_lo, s[22:23], v[0:1]
	s_branch .LBB34_3
.LBB34_2:                               ;   in Loop: Header=BB34_3 Depth=1
	s_wait_xcnt 0x0
	s_or_b32 exec_lo, exec_lo, s18
	s_add_co_i32 s2, s2, 0x10000
	s_delay_alu instid0(SALU_CYCLE_1)
	s_cmp_lt_u32 s2, s20
	s_cbranch_scc0 .LBB34_5
.LBB34_3:                               ; =>This Inner Loop Header: Depth=1
	s_and_saveexec_b32 s18, vcc_lo
	s_cbranch_execz .LBB34_2
; %bb.4:                                ;   in Loop: Header=BB34_3 Depth=1
	s_load_b64 s[22:23], s[16:17], s2 offset:0x0 scale_offset
	s_load_b64 s[24:25], s[12:13], s2 offset:0x0 scale_offset
	s_wait_kmcnt 0x0
	s_mul_u64 s[26:27], s[10:11], s[2:3]
	s_delay_alu instid0(SALU_CYCLE_1) | instskip(SKIP_2) | instid1(VALU_DEP_2)
	s_lshl_b64 s[26:27], s[26:27], 4
	s_add_nc_u64 s[22:23], s[22:23], s[0:1]
	s_add_nc_u64 s[24:25], s[24:25], s[14:15]
	v_lshl_add_u64 v[22:23], v[4:5], 4, s[22:23]
	s_delay_alu instid0(VALU_DEP_4)
	v_lshl_add_u64 v[24:25], v[2:3], 4, s[24:25]
	s_add_nc_u64 s[22:23], s[8:9], s[26:27]
	global_load_b128 v[6:9], v1, s[22:23]
	flat_load_b128 v[10:13], v[22:23]
	flat_load_b128 v[14:17], v[24:25]
	s_wait_xcnt 0x2
	s_mul_u64 s[22:23], s[6:7], s[2:3]
	s_delay_alu instid0(SALU_CYCLE_1) | instskip(NEXT) | instid1(SALU_CYCLE_1)
	s_lshl_b64 s[22:23], s[22:23], 4
	s_add_nc_u64 s[22:23], s[4:5], s[22:23]
	global_load_b64 v[26:27], v1, s[22:23]
	s_wait_loadcnt_dscnt 0x201
	v_mul_f64_e32 v[18:19], v[8:9], v[12:13]
	s_wait_loadcnt_dscnt 0x100
	v_mul_f64_e32 v[28:29], v[8:9], v[16:17]
	v_mul_f64_e32 v[30:31], v[8:9], v[14:15]
	;; [unrolled: 1-line block ×3, first 2 shown]
	s_delay_alu instid0(VALU_DEP_4) | instskip(NEXT) | instid1(VALU_DEP_4)
	v_fma_f64 v[18:19], v[6:7], v[10:11], -v[18:19]
	v_fmac_f64_e32 v[28:29], v[6:7], v[14:15]
	s_delay_alu instid0(VALU_DEP_4) | instskip(NEXT) | instid1(VALU_DEP_4)
	v_fma_f64 v[30:31], v[6:7], v[16:17], -v[30:31]
	v_fmac_f64_e32 v[20:21], v[8:9], v[10:11]
	s_wait_loadcnt 0x0
	s_delay_alu instid0(VALU_DEP_4) | instskip(NEXT) | instid1(VALU_DEP_4)
	v_fmac_f64_e32 v[18:19], v[26:27], v[14:15]
	v_fma_f64 v[6:7], v[26:27], v[10:11], -v[28:29]
	s_delay_alu instid0(VALU_DEP_4) | instskip(NEXT) | instid1(VALU_DEP_4)
	v_fma_f64 v[8:9], v[26:27], v[12:13], -v[30:31]
	v_fmac_f64_e32 v[20:21], v[26:27], v[16:17]
	flat_store_b128 v[22:23], v[6:9]
	flat_store_b128 v[24:25], v[18:21]
	s_branch .LBB34_2
.LBB34_5:
	s_endpgm
	.section	.rodata,"a",@progbits
	.p2align	6, 0x0
	.amdhsa_kernel _ZL18rocblas_rot_kernelIiLi512E19rocblas_complex_numIdEPKPS1_S4_PKS1_S6_EviT2_lllT3_lllT4_lT5_li
		.amdhsa_group_segment_fixed_size 0
		.amdhsa_private_segment_fixed_size 0
		.amdhsa_kernarg_size 368
		.amdhsa_user_sgpr_count 2
		.amdhsa_user_sgpr_dispatch_ptr 0
		.amdhsa_user_sgpr_queue_ptr 0
		.amdhsa_user_sgpr_kernarg_segment_ptr 1
		.amdhsa_user_sgpr_dispatch_id 0
		.amdhsa_user_sgpr_kernarg_preload_length 0
		.amdhsa_user_sgpr_kernarg_preload_offset 0
		.amdhsa_user_sgpr_private_segment_size 0
		.amdhsa_wavefront_size32 1
		.amdhsa_uses_dynamic_stack 0
		.amdhsa_enable_private_segment 0
		.amdhsa_system_sgpr_workgroup_id_x 1
		.amdhsa_system_sgpr_workgroup_id_y 0
		.amdhsa_system_sgpr_workgroup_id_z 1
		.amdhsa_system_sgpr_workgroup_info 0
		.amdhsa_system_vgpr_workitem_id 0
		.amdhsa_next_free_vgpr 32
		.amdhsa_next_free_sgpr 28
		.amdhsa_named_barrier_count 0
		.amdhsa_reserve_vcc 1
		.amdhsa_float_round_mode_32 0
		.amdhsa_float_round_mode_16_64 0
		.amdhsa_float_denorm_mode_32 3
		.amdhsa_float_denorm_mode_16_64 3
		.amdhsa_fp16_overflow 0
		.amdhsa_memory_ordered 1
		.amdhsa_forward_progress 1
		.amdhsa_inst_pref_size 5
		.amdhsa_round_robin_scheduling 0
		.amdhsa_exception_fp_ieee_invalid_op 0
		.amdhsa_exception_fp_denorm_src 0
		.amdhsa_exception_fp_ieee_div_zero 0
		.amdhsa_exception_fp_ieee_overflow 0
		.amdhsa_exception_fp_ieee_underflow 0
		.amdhsa_exception_fp_ieee_inexact 0
		.amdhsa_exception_int_div_zero 0
	.end_amdhsa_kernel
	.section	.text._ZL18rocblas_rot_kernelIiLi512E19rocblas_complex_numIdEPKPS1_S4_PKS1_S6_EviT2_lllT3_lllT4_lT5_li,"axG",@progbits,_ZL18rocblas_rot_kernelIiLi512E19rocblas_complex_numIdEPKPS1_S4_PKS1_S6_EviT2_lllT3_lllT4_lT5_li,comdat
.Lfunc_end34:
	.size	_ZL18rocblas_rot_kernelIiLi512E19rocblas_complex_numIdEPKPS1_S4_PKS1_S6_EviT2_lllT3_lllT4_lT5_li, .Lfunc_end34-_ZL18rocblas_rot_kernelIiLi512E19rocblas_complex_numIdEPKPS1_S4_PKS1_S6_EviT2_lllT3_lllT4_lT5_li
                                        ; -- End function
	.set _ZL18rocblas_rot_kernelIiLi512E19rocblas_complex_numIdEPKPS1_S4_PKS1_S6_EviT2_lllT3_lllT4_lT5_li.num_vgpr, 32
	.set _ZL18rocblas_rot_kernelIiLi512E19rocblas_complex_numIdEPKPS1_S4_PKS1_S6_EviT2_lllT3_lllT4_lT5_li.num_agpr, 0
	.set _ZL18rocblas_rot_kernelIiLi512E19rocblas_complex_numIdEPKPS1_S4_PKS1_S6_EviT2_lllT3_lllT4_lT5_li.numbered_sgpr, 28
	.set _ZL18rocblas_rot_kernelIiLi512E19rocblas_complex_numIdEPKPS1_S4_PKS1_S6_EviT2_lllT3_lllT4_lT5_li.num_named_barrier, 0
	.set _ZL18rocblas_rot_kernelIiLi512E19rocblas_complex_numIdEPKPS1_S4_PKS1_S6_EviT2_lllT3_lllT4_lT5_li.private_seg_size, 0
	.set _ZL18rocblas_rot_kernelIiLi512E19rocblas_complex_numIdEPKPS1_S4_PKS1_S6_EviT2_lllT3_lllT4_lT5_li.uses_vcc, 1
	.set _ZL18rocblas_rot_kernelIiLi512E19rocblas_complex_numIdEPKPS1_S4_PKS1_S6_EviT2_lllT3_lllT4_lT5_li.uses_flat_scratch, 0
	.set _ZL18rocblas_rot_kernelIiLi512E19rocblas_complex_numIdEPKPS1_S4_PKS1_S6_EviT2_lllT3_lllT4_lT5_li.has_dyn_sized_stack, 0
	.set _ZL18rocblas_rot_kernelIiLi512E19rocblas_complex_numIdEPKPS1_S4_PKS1_S6_EviT2_lllT3_lllT4_lT5_li.has_recursion, 0
	.set _ZL18rocblas_rot_kernelIiLi512E19rocblas_complex_numIdEPKPS1_S4_PKS1_S6_EviT2_lllT3_lllT4_lT5_li.has_indirect_call, 0
	.section	.AMDGPU.csdata,"",@progbits
; Kernel info:
; codeLenInByte = 516
; TotalNumSgprs: 30
; NumVgprs: 32
; ScratchSize: 0
; MemoryBound: 0
; FloatMode: 240
; IeeeMode: 1
; LDSByteSize: 0 bytes/workgroup (compile time only)
; SGPRBlocks: 0
; VGPRBlocks: 1
; NumSGPRsForWavesPerEU: 30
; NumVGPRsForWavesPerEU: 32
; NamedBarCnt: 0
; Occupancy: 16
; WaveLimiterHint : 1
; COMPUTE_PGM_RSRC2:SCRATCH_EN: 0
; COMPUTE_PGM_RSRC2:USER_SGPR: 2
; COMPUTE_PGM_RSRC2:TRAP_HANDLER: 0
; COMPUTE_PGM_RSRC2:TGID_X_EN: 1
; COMPUTE_PGM_RSRC2:TGID_Y_EN: 0
; COMPUTE_PGM_RSRC2:TGID_Z_EN: 1
; COMPUTE_PGM_RSRC2:TIDIG_COMP_CNT: 0
	.section	.text._ZL18rocblas_rot_kernelIiLi512E19rocblas_complex_numIdEPKPS1_S4_S1_S1_EviT2_lllT3_lllT4_lT5_li,"axG",@progbits,_ZL18rocblas_rot_kernelIiLi512E19rocblas_complex_numIdEPKPS1_S4_S1_S1_EviT2_lllT3_lllT4_lT5_li,comdat
	.globl	_ZL18rocblas_rot_kernelIiLi512E19rocblas_complex_numIdEPKPS1_S4_S1_S1_EviT2_lllT3_lllT4_lT5_li ; -- Begin function _ZL18rocblas_rot_kernelIiLi512E19rocblas_complex_numIdEPKPS1_S4_S1_S1_EviT2_lllT3_lllT4_lT5_li
	.p2align	8
	.type	_ZL18rocblas_rot_kernelIiLi512E19rocblas_complex_numIdEPKPS1_S4_S1_S1_EviT2_lllT3_lllT4_lT5_li,@function
_ZL18rocblas_rot_kernelIiLi512E19rocblas_complex_numIdEPKPS1_S4_S1_S1_EviT2_lllT3_lllT4_lT5_li: ; @_ZL18rocblas_rot_kernelIiLi512E19rocblas_complex_numIdEPKPS1_S4_S1_S1_EviT2_lllT3_lllT4_lT5_li
; %bb.0:
	s_load_b32 s16, s[0:1], 0x78
	s_bfe_u32 s2, ttmp6, 0x40014
	s_lshr_b32 s3, ttmp7, 16
	s_add_co_i32 s2, s2, 1
	s_bfe_u32 s5, ttmp6, 0x40008
	s_mul_i32 s4, s3, s2
	s_getreg_b32 s2, hwreg(HW_REG_IB_STS2, 6, 4)
	s_add_co_i32 s5, s5, s4
	s_cmp_eq_u32 s2, 0
	s_cselect_b32 s17, s3, s5
	s_wait_kmcnt 0x0
	s_cmp_ge_u32 s17, s16
	s_cbranch_scc1 .LBB35_5
; %bb.1:
	s_clause 0x2
	s_load_b32 s18, s[0:1], 0x0
	s_load_b32 s3, s[0:1], 0x8c
	s_load_b128 s[4:7], s[0:1], 0x8
	s_bfe_u32 s8, ttmp6, 0x4000c
	s_clause 0x1
	s_load_b64 s[12:13], s[0:1], 0x18
	s_load_b64 s[14:15], s[0:1], 0x38
	s_add_co_i32 s8, s8, 1
	s_and_b32 s9, ttmp6, 15
	s_mul_i32 s8, ttmp9, s8
	v_mov_b32_e32 v5, 0
	s_add_co_i32 s9, s9, s8
	s_wait_kmcnt 0x0
	s_ashr_i32 s19, s18, 31
	s_and_b32 s3, s3, 0xffff
	s_cmp_eq_u32 s2, 0
	s_cselect_b32 s2, ttmp9, s9
	s_lshl_b64 s[6:7], s[6:7], 4
	v_mad_u32 v4, s2, s3, v0
	s_clause 0x1
	s_load_b128 s[8:11], s[0:1], 0x28
	s_load_b64 s[2:3], s[0:1], 0x48
	s_delay_alu instid0(VALU_DEP_1)
	v_mul_u64_e32 v[0:1], s[12:13], v[4:5]
	v_mul_u64_e32 v[2:3], s[14:15], v[4:5]
	s_load_b128 s[12:15], s[0:1], 0x60
	v_cmp_gt_i64_e32 vcc_lo, s[18:19], v[4:5]
	s_wait_kmcnt 0x0
	s_lshl_b64 s[0:1], s[10:11], 4
	s_branch .LBB35_3
.LBB35_2:                               ;   in Loop: Header=BB35_3 Depth=1
	s_wait_xcnt 0x0
	s_or_b32 exec_lo, exec_lo, s10
	s_add_co_i32 s17, s17, 0x10000
	s_delay_alu instid0(SALU_CYCLE_1)
	s_cmp_lt_u32 s17, s16
	s_cbranch_scc0 .LBB35_5
.LBB35_3:                               ; =>This Inner Loop Header: Depth=1
	s_and_saveexec_b32 s10, vcc_lo
	s_cbranch_execz .LBB35_2
; %bb.4:                                ;   in Loop: Header=BB35_3 Depth=1
	s_load_b64 s[18:19], s[8:9], s17 offset:0x0 scale_offset
	s_load_b64 s[20:21], s[4:5], s17 offset:0x0 scale_offset
	s_wait_kmcnt 0x0
	s_add_nc_u64 s[18:19], s[18:19], s[0:1]
	s_add_nc_u64 s[20:21], s[20:21], s[6:7]
	s_delay_alu instid0(VALU_DEP_2) | instskip(NEXT) | instid1(VALU_DEP_4)
	v_lshl_add_u64 v[16:17], v[2:3], 4, s[18:19]
	v_lshl_add_u64 v[18:19], v[0:1], 4, s[20:21]
	flat_load_b128 v[4:7], v[16:17]
	flat_load_b128 v[8:11], v[18:19]
	s_wait_loadcnt_dscnt 0x101
	v_mul_f64_e32 v[12:13], s[14:15], v[6:7]
	s_wait_loadcnt_dscnt 0x0
	v_mul_f64_e32 v[20:21], s[14:15], v[10:11]
	v_mul_f64_e32 v[22:23], s[14:15], v[8:9]
	;; [unrolled: 1-line block ×3, first 2 shown]
	s_delay_alu instid0(VALU_DEP_4) | instskip(NEXT) | instid1(VALU_DEP_4)
	v_fma_f64 v[12:13], s[12:13], v[4:5], -v[12:13]
	v_fmac_f64_e32 v[20:21], s[12:13], v[8:9]
	s_delay_alu instid0(VALU_DEP_4) | instskip(NEXT) | instid1(VALU_DEP_4)
	v_fma_f64 v[22:23], s[12:13], v[10:11], -v[22:23]
	v_fmac_f64_e32 v[14:15], s[14:15], v[4:5]
	s_delay_alu instid0(VALU_DEP_4) | instskip(NEXT) | instid1(VALU_DEP_4)
	v_fmac_f64_e32 v[12:13], s[2:3], v[8:9]
	v_fma_f64 v[4:5], s[2:3], v[4:5], -v[20:21]
	s_delay_alu instid0(VALU_DEP_4) | instskip(NEXT) | instid1(VALU_DEP_4)
	v_fma_f64 v[6:7], s[2:3], v[6:7], -v[22:23]
	v_fmac_f64_e32 v[14:15], s[2:3], v[10:11]
	flat_store_b128 v[16:17], v[4:7]
	flat_store_b128 v[18:19], v[12:15]
	s_branch .LBB35_2
.LBB35_5:
	s_endpgm
	.section	.rodata,"a",@progbits
	.p2align	6, 0x0
	.amdhsa_kernel _ZL18rocblas_rot_kernelIiLi512E19rocblas_complex_numIdEPKPS1_S4_S1_S1_EviT2_lllT3_lllT4_lT5_li
		.amdhsa_group_segment_fixed_size 0
		.amdhsa_private_segment_fixed_size 0
		.amdhsa_kernarg_size 384
		.amdhsa_user_sgpr_count 2
		.amdhsa_user_sgpr_dispatch_ptr 0
		.amdhsa_user_sgpr_queue_ptr 0
		.amdhsa_user_sgpr_kernarg_segment_ptr 1
		.amdhsa_user_sgpr_dispatch_id 0
		.amdhsa_user_sgpr_kernarg_preload_length 0
		.amdhsa_user_sgpr_kernarg_preload_offset 0
		.amdhsa_user_sgpr_private_segment_size 0
		.amdhsa_wavefront_size32 1
		.amdhsa_uses_dynamic_stack 0
		.amdhsa_enable_private_segment 0
		.amdhsa_system_sgpr_workgroup_id_x 1
		.amdhsa_system_sgpr_workgroup_id_y 0
		.amdhsa_system_sgpr_workgroup_id_z 1
		.amdhsa_system_sgpr_workgroup_info 0
		.amdhsa_system_vgpr_workitem_id 0
		.amdhsa_next_free_vgpr 24
		.amdhsa_next_free_sgpr 22
		.amdhsa_named_barrier_count 0
		.amdhsa_reserve_vcc 1
		.amdhsa_float_round_mode_32 0
		.amdhsa_float_round_mode_16_64 0
		.amdhsa_float_denorm_mode_32 3
		.amdhsa_float_denorm_mode_16_64 3
		.amdhsa_fp16_overflow 0
		.amdhsa_memory_ordered 1
		.amdhsa_forward_progress 1
		.amdhsa_inst_pref_size 4
		.amdhsa_round_robin_scheduling 0
		.amdhsa_exception_fp_ieee_invalid_op 0
		.amdhsa_exception_fp_denorm_src 0
		.amdhsa_exception_fp_ieee_div_zero 0
		.amdhsa_exception_fp_ieee_overflow 0
		.amdhsa_exception_fp_ieee_underflow 0
		.amdhsa_exception_fp_ieee_inexact 0
		.amdhsa_exception_int_div_zero 0
	.end_amdhsa_kernel
	.section	.text._ZL18rocblas_rot_kernelIiLi512E19rocblas_complex_numIdEPKPS1_S4_S1_S1_EviT2_lllT3_lllT4_lT5_li,"axG",@progbits,_ZL18rocblas_rot_kernelIiLi512E19rocblas_complex_numIdEPKPS1_S4_S1_S1_EviT2_lllT3_lllT4_lT5_li,comdat
.Lfunc_end35:
	.size	_ZL18rocblas_rot_kernelIiLi512E19rocblas_complex_numIdEPKPS1_S4_S1_S1_EviT2_lllT3_lllT4_lT5_li, .Lfunc_end35-_ZL18rocblas_rot_kernelIiLi512E19rocblas_complex_numIdEPKPS1_S4_S1_S1_EviT2_lllT3_lllT4_lT5_li
                                        ; -- End function
	.set _ZL18rocblas_rot_kernelIiLi512E19rocblas_complex_numIdEPKPS1_S4_S1_S1_EviT2_lllT3_lllT4_lT5_li.num_vgpr, 24
	.set _ZL18rocblas_rot_kernelIiLi512E19rocblas_complex_numIdEPKPS1_S4_S1_S1_EviT2_lllT3_lllT4_lT5_li.num_agpr, 0
	.set _ZL18rocblas_rot_kernelIiLi512E19rocblas_complex_numIdEPKPS1_S4_S1_S1_EviT2_lllT3_lllT4_lT5_li.numbered_sgpr, 22
	.set _ZL18rocblas_rot_kernelIiLi512E19rocblas_complex_numIdEPKPS1_S4_S1_S1_EviT2_lllT3_lllT4_lT5_li.num_named_barrier, 0
	.set _ZL18rocblas_rot_kernelIiLi512E19rocblas_complex_numIdEPKPS1_S4_S1_S1_EviT2_lllT3_lllT4_lT5_li.private_seg_size, 0
	.set _ZL18rocblas_rot_kernelIiLi512E19rocblas_complex_numIdEPKPS1_S4_S1_S1_EviT2_lllT3_lllT4_lT5_li.uses_vcc, 1
	.set _ZL18rocblas_rot_kernelIiLi512E19rocblas_complex_numIdEPKPS1_S4_S1_S1_EviT2_lllT3_lllT4_lT5_li.uses_flat_scratch, 0
	.set _ZL18rocblas_rot_kernelIiLi512E19rocblas_complex_numIdEPKPS1_S4_S1_S1_EviT2_lllT3_lllT4_lT5_li.has_dyn_sized_stack, 0
	.set _ZL18rocblas_rot_kernelIiLi512E19rocblas_complex_numIdEPKPS1_S4_S1_S1_EviT2_lllT3_lllT4_lT5_li.has_recursion, 0
	.set _ZL18rocblas_rot_kernelIiLi512E19rocblas_complex_numIdEPKPS1_S4_S1_S1_EviT2_lllT3_lllT4_lT5_li.has_indirect_call, 0
	.section	.AMDGPU.csdata,"",@progbits
; Kernel info:
; codeLenInByte = 460
; TotalNumSgprs: 24
; NumVgprs: 24
; ScratchSize: 0
; MemoryBound: 0
; FloatMode: 240
; IeeeMode: 1
; LDSByteSize: 0 bytes/workgroup (compile time only)
; SGPRBlocks: 0
; VGPRBlocks: 1
; NumSGPRsForWavesPerEU: 24
; NumVGPRsForWavesPerEU: 24
; NamedBarCnt: 0
; Occupancy: 16
; WaveLimiterHint : 1
; COMPUTE_PGM_RSRC2:SCRATCH_EN: 0
; COMPUTE_PGM_RSRC2:USER_SGPR: 2
; COMPUTE_PGM_RSRC2:TRAP_HANDLER: 0
; COMPUTE_PGM_RSRC2:TGID_X_EN: 1
; COMPUTE_PGM_RSRC2:TGID_Y_EN: 0
; COMPUTE_PGM_RSRC2:TGID_Z_EN: 1
; COMPUTE_PGM_RSRC2:TIDIG_COMP_CNT: 0
	.section	.text._ZL18rocblas_rot_kernelIiLi512E19rocblas_complex_numIdEPKPS1_S4_PKdS6_EviT2_lllT3_lllT4_lT5_li,"axG",@progbits,_ZL18rocblas_rot_kernelIiLi512E19rocblas_complex_numIdEPKPS1_S4_PKdS6_EviT2_lllT3_lllT4_lT5_li,comdat
	.globl	_ZL18rocblas_rot_kernelIiLi512E19rocblas_complex_numIdEPKPS1_S4_PKdS6_EviT2_lllT3_lllT4_lT5_li ; -- Begin function _ZL18rocblas_rot_kernelIiLi512E19rocblas_complex_numIdEPKPS1_S4_PKdS6_EviT2_lllT3_lllT4_lT5_li
	.p2align	8
	.type	_ZL18rocblas_rot_kernelIiLi512E19rocblas_complex_numIdEPKPS1_S4_PKdS6_EviT2_lllT3_lllT4_lT5_li,@function
_ZL18rocblas_rot_kernelIiLi512E19rocblas_complex_numIdEPKPS1_S4_PKdS6_EviT2_lllT3_lllT4_lT5_li: ; @_ZL18rocblas_rot_kernelIiLi512E19rocblas_complex_numIdEPKPS1_S4_PKdS6_EviT2_lllT3_lllT4_lT5_li
; %bb.0:
	s_load_b32 s20, s[0:1], 0x68
	s_bfe_u32 s2, ttmp6, 0x40014
	s_lshr_b32 s3, ttmp7, 16
	s_add_co_i32 s2, s2, 1
	s_bfe_u32 s5, ttmp6, 0x40008
	s_mul_i32 s2, s3, s2
	s_getreg_b32 s4, hwreg(HW_REG_IB_STS2, 6, 4)
	s_add_co_i32 s5, s5, s2
	s_cmp_eq_u32 s4, 0
	s_cselect_b32 s2, s3, s5
	s_mov_b32 s3, 0
	s_wait_kmcnt 0x0
	s_cmp_ge_u32 s2, s20
	s_cbranch_scc1 .LBB36_5
; %bb.1:
	s_clause 0x2
	s_load_b32 s22, s[0:1], 0x0
	s_load_b32 s5, s[0:1], 0x7c
	s_load_b128 s[12:15], s[0:1], 0x8
	s_bfe_u32 s8, ttmp6, 0x4000c
	s_clause 0x1
	s_load_b64 s[6:7], s[0:1], 0x18
	s_load_b128 s[16:19], s[0:1], 0x28
	s_add_co_i32 s8, s8, 1
	s_and_b32 s10, ttmp6, 15
	s_mul_i32 s11, ttmp9, s8
	s_load_b64 s[8:9], s[0:1], 0x38
	s_add_co_i32 s10, s10, s11
	v_mov_b32_e32 v1, 0
	s_wait_kmcnt 0x0
	s_ashr_i32 s23, s22, 31
	s_and_b32 s5, s5, 0xffff
	s_cmp_eq_u32 s4, 0
	s_cselect_b32 s4, ttmp9, s10
	s_lshl_b64 s[14:15], s[14:15], 4
	v_mad_u32 v0, s4, s5, v0
	s_delay_alu instid0(VALU_DEP_1)
	v_mul_u64_e32 v[2:3], s[6:7], v[0:1]
	v_mul_u64_e32 v[4:5], s[8:9], v[0:1]
	s_load_b256 s[4:11], s[0:1], 0x48
	s_wait_xcnt 0x0
	s_lshl_b64 s[0:1], s[18:19], 4
	v_cmp_gt_i64_e32 vcc_lo, s[22:23], v[0:1]
	s_branch .LBB36_3
.LBB36_2:                               ;   in Loop: Header=BB36_3 Depth=1
	s_wait_xcnt 0x0
	s_or_b32 exec_lo, exec_lo, s18
	s_add_co_i32 s2, s2, 0x10000
	s_delay_alu instid0(SALU_CYCLE_1)
	s_cmp_lt_u32 s2, s20
	s_cbranch_scc0 .LBB36_5
.LBB36_3:                               ; =>This Inner Loop Header: Depth=1
	s_and_saveexec_b32 s18, vcc_lo
	s_cbranch_execz .LBB36_2
; %bb.4:                                ;   in Loop: Header=BB36_3 Depth=1
	s_load_b64 s[22:23], s[16:17], s2 offset:0x0 scale_offset
	s_load_b64 s[24:25], s[12:13], s2 offset:0x0 scale_offset
	s_wait_kmcnt 0x0
	s_mul_u64 s[26:27], s[10:11], s[2:3]
	s_delay_alu instid0(SALU_CYCLE_1) | instskip(SKIP_2) | instid1(VALU_DEP_2)
	s_lshl_b64 s[26:27], s[26:27], 3
	s_add_nc_u64 s[22:23], s[22:23], s[0:1]
	s_add_nc_u64 s[24:25], s[24:25], s[14:15]
	v_lshl_add_u64 v[18:19], v[4:5], 4, s[22:23]
	s_delay_alu instid0(VALU_DEP_4)
	v_lshl_add_u64 v[20:21], v[2:3], 4, s[24:25]
	s_add_nc_u64 s[22:23], s[8:9], s[26:27]
	global_load_b64 v[16:17], v1, s[22:23]
	flat_load_b128 v[6:9], v[18:19]
	flat_load_b128 v[10:13], v[20:21]
	s_wait_xcnt 0x2
	s_mul_u64 s[22:23], s[6:7], s[2:3]
	s_delay_alu instid0(SALU_CYCLE_1) | instskip(NEXT) | instid1(SALU_CYCLE_1)
	s_lshl_b64 s[22:23], s[22:23], 3
	s_add_nc_u64 s[22:23], s[4:5], s[22:23]
	global_load_b64 v[22:23], v1, s[22:23]
	s_wait_loadcnt_dscnt 0x201
	v_mul_f64_e32 v[14:15], v[16:17], v[6:7]
	s_wait_loadcnt_dscnt 0x100
	v_mul_f64_e32 v[24:25], v[16:17], v[10:11]
	v_mul_f64_e32 v[26:27], v[16:17], v[12:13]
	;; [unrolled: 1-line block ×3, first 2 shown]
	s_wait_loadcnt 0x0
	s_delay_alu instid0(VALU_DEP_4) | instskip(NEXT) | instid1(VALU_DEP_4)
	v_fmac_f64_e32 v[14:15], v[22:23], v[10:11]
	v_fma_f64 v[6:7], v[22:23], v[6:7], -v[24:25]
	s_delay_alu instid0(VALU_DEP_4) | instskip(NEXT) | instid1(VALU_DEP_4)
	v_fma_f64 v[8:9], v[22:23], v[8:9], -v[26:27]
	v_fmac_f64_e32 v[16:17], v[22:23], v[12:13]
	flat_store_b128 v[18:19], v[6:9]
	flat_store_b128 v[20:21], v[14:17]
	s_branch .LBB36_2
.LBB36_5:
	s_endpgm
	.section	.rodata,"a",@progbits
	.p2align	6, 0x0
	.amdhsa_kernel _ZL18rocblas_rot_kernelIiLi512E19rocblas_complex_numIdEPKPS1_S4_PKdS6_EviT2_lllT3_lllT4_lT5_li
		.amdhsa_group_segment_fixed_size 0
		.amdhsa_private_segment_fixed_size 0
		.amdhsa_kernarg_size 368
		.amdhsa_user_sgpr_count 2
		.amdhsa_user_sgpr_dispatch_ptr 0
		.amdhsa_user_sgpr_queue_ptr 0
		.amdhsa_user_sgpr_kernarg_segment_ptr 1
		.amdhsa_user_sgpr_dispatch_id 0
		.amdhsa_user_sgpr_kernarg_preload_length 0
		.amdhsa_user_sgpr_kernarg_preload_offset 0
		.amdhsa_user_sgpr_private_segment_size 0
		.amdhsa_wavefront_size32 1
		.amdhsa_uses_dynamic_stack 0
		.amdhsa_enable_private_segment 0
		.amdhsa_system_sgpr_workgroup_id_x 1
		.amdhsa_system_sgpr_workgroup_id_y 0
		.amdhsa_system_sgpr_workgroup_id_z 1
		.amdhsa_system_sgpr_workgroup_info 0
		.amdhsa_system_vgpr_workitem_id 0
		.amdhsa_next_free_vgpr 28
		.amdhsa_next_free_sgpr 28
		.amdhsa_named_barrier_count 0
		.amdhsa_reserve_vcc 1
		.amdhsa_float_round_mode_32 0
		.amdhsa_float_round_mode_16_64 0
		.amdhsa_float_denorm_mode_32 3
		.amdhsa_float_denorm_mode_16_64 3
		.amdhsa_fp16_overflow 0
		.amdhsa_memory_ordered 1
		.amdhsa_forward_progress 1
		.amdhsa_inst_pref_size 4
		.amdhsa_round_robin_scheduling 0
		.amdhsa_exception_fp_ieee_invalid_op 0
		.amdhsa_exception_fp_denorm_src 0
		.amdhsa_exception_fp_ieee_div_zero 0
		.amdhsa_exception_fp_ieee_overflow 0
		.amdhsa_exception_fp_ieee_underflow 0
		.amdhsa_exception_fp_ieee_inexact 0
		.amdhsa_exception_int_div_zero 0
	.end_amdhsa_kernel
	.section	.text._ZL18rocblas_rot_kernelIiLi512E19rocblas_complex_numIdEPKPS1_S4_PKdS6_EviT2_lllT3_lllT4_lT5_li,"axG",@progbits,_ZL18rocblas_rot_kernelIiLi512E19rocblas_complex_numIdEPKPS1_S4_PKdS6_EviT2_lllT3_lllT4_lT5_li,comdat
.Lfunc_end36:
	.size	_ZL18rocblas_rot_kernelIiLi512E19rocblas_complex_numIdEPKPS1_S4_PKdS6_EviT2_lllT3_lllT4_lT5_li, .Lfunc_end36-_ZL18rocblas_rot_kernelIiLi512E19rocblas_complex_numIdEPKPS1_S4_PKdS6_EviT2_lllT3_lllT4_lT5_li
                                        ; -- End function
	.set _ZL18rocblas_rot_kernelIiLi512E19rocblas_complex_numIdEPKPS1_S4_PKdS6_EviT2_lllT3_lllT4_lT5_li.num_vgpr, 28
	.set _ZL18rocblas_rot_kernelIiLi512E19rocblas_complex_numIdEPKPS1_S4_PKdS6_EviT2_lllT3_lllT4_lT5_li.num_agpr, 0
	.set _ZL18rocblas_rot_kernelIiLi512E19rocblas_complex_numIdEPKPS1_S4_PKdS6_EviT2_lllT3_lllT4_lT5_li.numbered_sgpr, 28
	.set _ZL18rocblas_rot_kernelIiLi512E19rocblas_complex_numIdEPKPS1_S4_PKdS6_EviT2_lllT3_lllT4_lT5_li.num_named_barrier, 0
	.set _ZL18rocblas_rot_kernelIiLi512E19rocblas_complex_numIdEPKPS1_S4_PKdS6_EviT2_lllT3_lllT4_lT5_li.private_seg_size, 0
	.set _ZL18rocblas_rot_kernelIiLi512E19rocblas_complex_numIdEPKPS1_S4_PKdS6_EviT2_lllT3_lllT4_lT5_li.uses_vcc, 1
	.set _ZL18rocblas_rot_kernelIiLi512E19rocblas_complex_numIdEPKPS1_S4_PKdS6_EviT2_lllT3_lllT4_lT5_li.uses_flat_scratch, 0
	.set _ZL18rocblas_rot_kernelIiLi512E19rocblas_complex_numIdEPKPS1_S4_PKdS6_EviT2_lllT3_lllT4_lT5_li.has_dyn_sized_stack, 0
	.set _ZL18rocblas_rot_kernelIiLi512E19rocblas_complex_numIdEPKPS1_S4_PKdS6_EviT2_lllT3_lllT4_lT5_li.has_recursion, 0
	.set _ZL18rocblas_rot_kernelIiLi512E19rocblas_complex_numIdEPKPS1_S4_PKdS6_EviT2_lllT3_lllT4_lT5_li.has_indirect_call, 0
	.section	.AMDGPU.csdata,"",@progbits
; Kernel info:
; codeLenInByte = 484
; TotalNumSgprs: 30
; NumVgprs: 28
; ScratchSize: 0
; MemoryBound: 0
; FloatMode: 240
; IeeeMode: 1
; LDSByteSize: 0 bytes/workgroup (compile time only)
; SGPRBlocks: 0
; VGPRBlocks: 1
; NumSGPRsForWavesPerEU: 30
; NumVGPRsForWavesPerEU: 28
; NamedBarCnt: 0
; Occupancy: 16
; WaveLimiterHint : 1
; COMPUTE_PGM_RSRC2:SCRATCH_EN: 0
; COMPUTE_PGM_RSRC2:USER_SGPR: 2
; COMPUTE_PGM_RSRC2:TRAP_HANDLER: 0
; COMPUTE_PGM_RSRC2:TGID_X_EN: 1
; COMPUTE_PGM_RSRC2:TGID_Y_EN: 0
; COMPUTE_PGM_RSRC2:TGID_Z_EN: 1
; COMPUTE_PGM_RSRC2:TIDIG_COMP_CNT: 0
	.section	.text._ZL18rocblas_rot_kernelIiLi512E19rocblas_complex_numIdEPKPS1_S4_ddEviT2_lllT3_lllT4_lT5_li,"axG",@progbits,_ZL18rocblas_rot_kernelIiLi512E19rocblas_complex_numIdEPKPS1_S4_ddEviT2_lllT3_lllT4_lT5_li,comdat
	.globl	_ZL18rocblas_rot_kernelIiLi512E19rocblas_complex_numIdEPKPS1_S4_ddEviT2_lllT3_lllT4_lT5_li ; -- Begin function _ZL18rocblas_rot_kernelIiLi512E19rocblas_complex_numIdEPKPS1_S4_ddEviT2_lllT3_lllT4_lT5_li
	.p2align	8
	.type	_ZL18rocblas_rot_kernelIiLi512E19rocblas_complex_numIdEPKPS1_S4_ddEviT2_lllT3_lllT4_lT5_li,@function
_ZL18rocblas_rot_kernelIiLi512E19rocblas_complex_numIdEPKPS1_S4_ddEviT2_lllT3_lllT4_lT5_li: ; @_ZL18rocblas_rot_kernelIiLi512E19rocblas_complex_numIdEPKPS1_S4_ddEviT2_lllT3_lllT4_lT5_li
; %bb.0:
	s_load_b32 s14, s[0:1], 0x68
	s_bfe_u32 s2, ttmp6, 0x40014
	s_lshr_b32 s3, ttmp7, 16
	s_add_co_i32 s2, s2, 1
	s_bfe_u32 s5, ttmp6, 0x40008
	s_mul_i32 s4, s3, s2
	s_getreg_b32 s2, hwreg(HW_REG_IB_STS2, 6, 4)
	s_add_co_i32 s5, s5, s4
	s_cmp_eq_u32 s2, 0
	s_cselect_b32 s15, s3, s5
	s_wait_kmcnt 0x0
	s_cmp_ge_u32 s15, s14
	s_cbranch_scc1 .LBB37_5
; %bb.1:
	s_clause 0x2
	s_load_b32 s16, s[0:1], 0x0
	s_load_b32 s3, s[0:1], 0x7c
	s_load_b128 s[4:7], s[0:1], 0x8
	s_bfe_u32 s8, ttmp6, 0x4000c
	s_clause 0x1
	s_load_b64 s[18:19], s[0:1], 0x18
	s_load_b64 s[20:21], s[0:1], 0x38
	s_add_co_i32 s8, s8, 1
	s_and_b32 s9, ttmp6, 15
	s_mul_i32 s8, ttmp9, s8
	v_mov_b32_e32 v5, 0
	s_add_co_i32 s9, s9, s8
	s_wait_kmcnt 0x0
	s_ashr_i32 s17, s16, 31
	s_and_b32 s3, s3, 0xffff
	s_cmp_eq_u32 s2, 0
	s_cselect_b32 s2, ttmp9, s9
	s_lshl_b64 s[6:7], s[6:7], 4
	v_mad_u32 v4, s2, s3, v0
	s_clause 0x2
	s_load_b64 s[2:3], s[0:1], 0x48
	s_load_b64 s[12:13], s[0:1], 0x58
	s_load_b128 s[8:11], s[0:1], 0x28
	s_delay_alu instid0(VALU_DEP_1)
	v_mul_u64_e32 v[0:1], s[18:19], v[4:5]
	v_mul_u64_e32 v[2:3], s[20:21], v[4:5]
	v_cmp_gt_i64_e32 vcc_lo, s[16:17], v[4:5]
	s_wait_kmcnt 0x0
	s_lshl_b64 s[0:1], s[10:11], 4
	s_branch .LBB37_3
.LBB37_2:                               ;   in Loop: Header=BB37_3 Depth=1
	s_wait_xcnt 0x0
	s_or_b32 exec_lo, exec_lo, s10
	s_add_co_i32 s15, s15, 0x10000
	s_delay_alu instid0(SALU_CYCLE_1)
	s_cmp_lt_u32 s15, s14
	s_cbranch_scc0 .LBB37_5
.LBB37_3:                               ; =>This Inner Loop Header: Depth=1
	s_and_saveexec_b32 s10, vcc_lo
	s_cbranch_execz .LBB37_2
; %bb.4:                                ;   in Loop: Header=BB37_3 Depth=1
	s_load_b64 s[16:17], s[8:9], s15 offset:0x0 scale_offset
	s_load_b64 s[18:19], s[4:5], s15 offset:0x0 scale_offset
	s_wait_kmcnt 0x0
	s_add_nc_u64 s[16:17], s[16:17], s[0:1]
	s_add_nc_u64 s[18:19], s[18:19], s[6:7]
	s_delay_alu instid0(VALU_DEP_2) | instskip(NEXT) | instid1(VALU_DEP_4)
	v_lshl_add_u64 v[16:17], v[2:3], 4, s[16:17]
	v_lshl_add_u64 v[18:19], v[0:1], 4, s[18:19]
	flat_load_b128 v[4:7], v[16:17]
	flat_load_b128 v[8:11], v[18:19]
	s_wait_loadcnt_dscnt 0x101
	v_mul_f64_e32 v[12:13], s[12:13], v[4:5]
	s_wait_loadcnt_dscnt 0x0
	v_mul_f64_e32 v[20:21], s[12:13], v[8:9]
	v_mul_f64_e32 v[22:23], s[12:13], v[10:11]
	;; [unrolled: 1-line block ×3, first 2 shown]
	s_delay_alu instid0(VALU_DEP_4) | instskip(NEXT) | instid1(VALU_DEP_4)
	v_fmac_f64_e32 v[12:13], s[2:3], v[8:9]
	v_fma_f64 v[4:5], s[2:3], v[4:5], -v[20:21]
	s_delay_alu instid0(VALU_DEP_4) | instskip(NEXT) | instid1(VALU_DEP_4)
	v_fma_f64 v[6:7], s[2:3], v[6:7], -v[22:23]
	v_fmac_f64_e32 v[14:15], s[2:3], v[10:11]
	flat_store_b128 v[16:17], v[4:7]
	flat_store_b128 v[18:19], v[12:15]
	s_branch .LBB37_2
.LBB37_5:
	s_endpgm
	.section	.rodata,"a",@progbits
	.p2align	6, 0x0
	.amdhsa_kernel _ZL18rocblas_rot_kernelIiLi512E19rocblas_complex_numIdEPKPS1_S4_ddEviT2_lllT3_lllT4_lT5_li
		.amdhsa_group_segment_fixed_size 0
		.amdhsa_private_segment_fixed_size 0
		.amdhsa_kernarg_size 368
		.amdhsa_user_sgpr_count 2
		.amdhsa_user_sgpr_dispatch_ptr 0
		.amdhsa_user_sgpr_queue_ptr 0
		.amdhsa_user_sgpr_kernarg_segment_ptr 1
		.amdhsa_user_sgpr_dispatch_id 0
		.amdhsa_user_sgpr_kernarg_preload_length 0
		.amdhsa_user_sgpr_kernarg_preload_offset 0
		.amdhsa_user_sgpr_private_segment_size 0
		.amdhsa_wavefront_size32 1
		.amdhsa_uses_dynamic_stack 0
		.amdhsa_enable_private_segment 0
		.amdhsa_system_sgpr_workgroup_id_x 1
		.amdhsa_system_sgpr_workgroup_id_y 0
		.amdhsa_system_sgpr_workgroup_id_z 1
		.amdhsa_system_sgpr_workgroup_info 0
		.amdhsa_system_vgpr_workitem_id 0
		.amdhsa_next_free_vgpr 24
		.amdhsa_next_free_sgpr 22
		.amdhsa_named_barrier_count 0
		.amdhsa_reserve_vcc 1
		.amdhsa_float_round_mode_32 0
		.amdhsa_float_round_mode_16_64 0
		.amdhsa_float_denorm_mode_32 3
		.amdhsa_float_denorm_mode_16_64 3
		.amdhsa_fp16_overflow 0
		.amdhsa_memory_ordered 1
		.amdhsa_forward_progress 1
		.amdhsa_inst_pref_size 4
		.amdhsa_round_robin_scheduling 0
		.amdhsa_exception_fp_ieee_invalid_op 0
		.amdhsa_exception_fp_denorm_src 0
		.amdhsa_exception_fp_ieee_div_zero 0
		.amdhsa_exception_fp_ieee_overflow 0
		.amdhsa_exception_fp_ieee_underflow 0
		.amdhsa_exception_fp_ieee_inexact 0
		.amdhsa_exception_int_div_zero 0
	.end_amdhsa_kernel
	.section	.text._ZL18rocblas_rot_kernelIiLi512E19rocblas_complex_numIdEPKPS1_S4_ddEviT2_lllT3_lllT4_lT5_li,"axG",@progbits,_ZL18rocblas_rot_kernelIiLi512E19rocblas_complex_numIdEPKPS1_S4_ddEviT2_lllT3_lllT4_lT5_li,comdat
.Lfunc_end37:
	.size	_ZL18rocblas_rot_kernelIiLi512E19rocblas_complex_numIdEPKPS1_S4_ddEviT2_lllT3_lllT4_lT5_li, .Lfunc_end37-_ZL18rocblas_rot_kernelIiLi512E19rocblas_complex_numIdEPKPS1_S4_ddEviT2_lllT3_lllT4_lT5_li
                                        ; -- End function
	.set _ZL18rocblas_rot_kernelIiLi512E19rocblas_complex_numIdEPKPS1_S4_ddEviT2_lllT3_lllT4_lT5_li.num_vgpr, 24
	.set _ZL18rocblas_rot_kernelIiLi512E19rocblas_complex_numIdEPKPS1_S4_ddEviT2_lllT3_lllT4_lT5_li.num_agpr, 0
	.set _ZL18rocblas_rot_kernelIiLi512E19rocblas_complex_numIdEPKPS1_S4_ddEviT2_lllT3_lllT4_lT5_li.numbered_sgpr, 22
	.set _ZL18rocblas_rot_kernelIiLi512E19rocblas_complex_numIdEPKPS1_S4_ddEviT2_lllT3_lllT4_lT5_li.num_named_barrier, 0
	.set _ZL18rocblas_rot_kernelIiLi512E19rocblas_complex_numIdEPKPS1_S4_ddEviT2_lllT3_lllT4_lT5_li.private_seg_size, 0
	.set _ZL18rocblas_rot_kernelIiLi512E19rocblas_complex_numIdEPKPS1_S4_ddEviT2_lllT3_lllT4_lT5_li.uses_vcc, 1
	.set _ZL18rocblas_rot_kernelIiLi512E19rocblas_complex_numIdEPKPS1_S4_ddEviT2_lllT3_lllT4_lT5_li.uses_flat_scratch, 0
	.set _ZL18rocblas_rot_kernelIiLi512E19rocblas_complex_numIdEPKPS1_S4_ddEviT2_lllT3_lllT4_lT5_li.has_dyn_sized_stack, 0
	.set _ZL18rocblas_rot_kernelIiLi512E19rocblas_complex_numIdEPKPS1_S4_ddEviT2_lllT3_lllT4_lT5_li.has_recursion, 0
	.set _ZL18rocblas_rot_kernelIiLi512E19rocblas_complex_numIdEPKPS1_S4_ddEviT2_lllT3_lllT4_lT5_li.has_indirect_call, 0
	.section	.AMDGPU.csdata,"",@progbits
; Kernel info:
; codeLenInByte = 428
; TotalNumSgprs: 24
; NumVgprs: 24
; ScratchSize: 0
; MemoryBound: 0
; FloatMode: 240
; IeeeMode: 1
; LDSByteSize: 0 bytes/workgroup (compile time only)
; SGPRBlocks: 0
; VGPRBlocks: 1
; NumSGPRsForWavesPerEU: 24
; NumVGPRsForWavesPerEU: 24
; NamedBarCnt: 0
; Occupancy: 16
; WaveLimiterHint : 1
; COMPUTE_PGM_RSRC2:SCRATCH_EN: 0
; COMPUTE_PGM_RSRC2:USER_SGPR: 2
; COMPUTE_PGM_RSRC2:TRAP_HANDLER: 0
; COMPUTE_PGM_RSRC2:TGID_X_EN: 1
; COMPUTE_PGM_RSRC2:TGID_Y_EN: 0
; COMPUTE_PGM_RSRC2:TGID_Z_EN: 1
; COMPUTE_PGM_RSRC2:TIDIG_COMP_CNT: 0
	.section	.text._ZL18rocblas_rot_kernelIiLi512E19rocblas_complex_numIdEPKPS1_S4_PKdPKS1_EviT2_lllT3_lllT4_lT5_li,"axG",@progbits,_ZL18rocblas_rot_kernelIiLi512E19rocblas_complex_numIdEPKPS1_S4_PKdPKS1_EviT2_lllT3_lllT4_lT5_li,comdat
	.globl	_ZL18rocblas_rot_kernelIiLi512E19rocblas_complex_numIdEPKPS1_S4_PKdPKS1_EviT2_lllT3_lllT4_lT5_li ; -- Begin function _ZL18rocblas_rot_kernelIiLi512E19rocblas_complex_numIdEPKPS1_S4_PKdPKS1_EviT2_lllT3_lllT4_lT5_li
	.p2align	8
	.type	_ZL18rocblas_rot_kernelIiLi512E19rocblas_complex_numIdEPKPS1_S4_PKdPKS1_EviT2_lllT3_lllT4_lT5_li,@function
_ZL18rocblas_rot_kernelIiLi512E19rocblas_complex_numIdEPKPS1_S4_PKdPKS1_EviT2_lllT3_lllT4_lT5_li: ; @_ZL18rocblas_rot_kernelIiLi512E19rocblas_complex_numIdEPKPS1_S4_PKdPKS1_EviT2_lllT3_lllT4_lT5_li
; %bb.0:
	s_load_b32 s20, s[0:1], 0x68
	s_bfe_u32 s2, ttmp6, 0x40014
	s_lshr_b32 s3, ttmp7, 16
	s_add_co_i32 s2, s2, 1
	s_bfe_u32 s5, ttmp6, 0x40008
	s_mul_i32 s2, s3, s2
	s_getreg_b32 s4, hwreg(HW_REG_IB_STS2, 6, 4)
	s_add_co_i32 s5, s5, s2
	s_cmp_eq_u32 s4, 0
	s_cselect_b32 s2, s3, s5
	s_mov_b32 s3, 0
	s_wait_kmcnt 0x0
	s_cmp_ge_u32 s2, s20
	s_cbranch_scc1 .LBB38_5
; %bb.1:
	s_clause 0x2
	s_load_b32 s22, s[0:1], 0x0
	s_load_b32 s5, s[0:1], 0x7c
	s_load_b128 s[12:15], s[0:1], 0x8
	s_bfe_u32 s8, ttmp6, 0x4000c
	s_clause 0x1
	s_load_b64 s[6:7], s[0:1], 0x18
	s_load_b128 s[16:19], s[0:1], 0x28
	s_add_co_i32 s8, s8, 1
	s_and_b32 s10, ttmp6, 15
	s_mul_i32 s11, ttmp9, s8
	s_load_b64 s[8:9], s[0:1], 0x38
	s_add_co_i32 s10, s10, s11
	v_mov_b32_e32 v1, 0
	s_wait_kmcnt 0x0
	s_ashr_i32 s23, s22, 31
	s_and_b32 s5, s5, 0xffff
	s_cmp_eq_u32 s4, 0
	s_cselect_b32 s4, ttmp9, s10
	s_lshl_b64 s[14:15], s[14:15], 4
	v_mad_u32 v0, s4, s5, v0
	s_delay_alu instid0(VALU_DEP_1)
	v_mul_u64_e32 v[2:3], s[6:7], v[0:1]
	v_mul_u64_e32 v[4:5], s[8:9], v[0:1]
	s_load_b256 s[4:11], s[0:1], 0x48
	s_wait_xcnt 0x0
	s_lshl_b64 s[0:1], s[18:19], 4
	v_cmp_gt_i64_e32 vcc_lo, s[22:23], v[0:1]
	s_branch .LBB38_3
.LBB38_2:                               ;   in Loop: Header=BB38_3 Depth=1
	s_wait_xcnt 0x0
	s_or_b32 exec_lo, exec_lo, s18
	s_add_co_i32 s2, s2, 0x10000
	s_delay_alu instid0(SALU_CYCLE_1)
	s_cmp_lt_u32 s2, s20
	s_cbranch_scc0 .LBB38_5
.LBB38_3:                               ; =>This Inner Loop Header: Depth=1
	s_and_saveexec_b32 s18, vcc_lo
	s_cbranch_execz .LBB38_2
; %bb.4:                                ;   in Loop: Header=BB38_3 Depth=1
	s_load_b64 s[22:23], s[16:17], s2 offset:0x0 scale_offset
	s_load_b64 s[24:25], s[12:13], s2 offset:0x0 scale_offset
	s_wait_kmcnt 0x0
	s_mul_u64 s[26:27], s[10:11], s[2:3]
	s_delay_alu instid0(SALU_CYCLE_1) | instskip(SKIP_2) | instid1(VALU_DEP_2)
	s_lshl_b64 s[26:27], s[26:27], 4
	s_add_nc_u64 s[22:23], s[22:23], s[0:1]
	s_add_nc_u64 s[24:25], s[24:25], s[14:15]
	v_lshl_add_u64 v[22:23], v[4:5], 4, s[22:23]
	s_delay_alu instid0(VALU_DEP_4)
	v_lshl_add_u64 v[24:25], v[2:3], 4, s[24:25]
	s_add_nc_u64 s[22:23], s[8:9], s[26:27]
	global_load_b128 v[6:9], v1, s[22:23]
	flat_load_b128 v[10:13], v[22:23]
	flat_load_b128 v[14:17], v[24:25]
	s_wait_xcnt 0x2
	s_mul_u64 s[22:23], s[6:7], s[2:3]
	s_delay_alu instid0(SALU_CYCLE_1) | instskip(NEXT) | instid1(SALU_CYCLE_1)
	s_lshl_b64 s[22:23], s[22:23], 3
	s_add_nc_u64 s[22:23], s[4:5], s[22:23]
	global_load_b64 v[26:27], v1, s[22:23]
	s_wait_loadcnt_dscnt 0x201
	v_mul_f64_e32 v[18:19], v[8:9], v[12:13]
	s_wait_loadcnt_dscnt 0x100
	v_mul_f64_e32 v[28:29], v[8:9], v[16:17]
	v_mul_f64_e32 v[30:31], v[8:9], v[14:15]
	;; [unrolled: 1-line block ×3, first 2 shown]
	s_delay_alu instid0(VALU_DEP_4) | instskip(NEXT) | instid1(VALU_DEP_4)
	v_fma_f64 v[18:19], v[6:7], v[10:11], -v[18:19]
	v_fmac_f64_e32 v[28:29], v[6:7], v[14:15]
	s_delay_alu instid0(VALU_DEP_4) | instskip(NEXT) | instid1(VALU_DEP_4)
	v_fma_f64 v[30:31], v[6:7], v[16:17], -v[30:31]
	v_fmac_f64_e32 v[20:21], v[8:9], v[10:11]
	s_wait_loadcnt 0x0
	s_delay_alu instid0(VALU_DEP_4) | instskip(NEXT) | instid1(VALU_DEP_4)
	v_fmac_f64_e32 v[18:19], v[26:27], v[14:15]
	v_fma_f64 v[6:7], v[26:27], v[10:11], -v[28:29]
	s_delay_alu instid0(VALU_DEP_4) | instskip(NEXT) | instid1(VALU_DEP_4)
	v_fma_f64 v[8:9], v[26:27], v[12:13], -v[30:31]
	v_fmac_f64_e32 v[20:21], v[26:27], v[16:17]
	flat_store_b128 v[22:23], v[6:9]
	flat_store_b128 v[24:25], v[18:21]
	s_branch .LBB38_2
.LBB38_5:
	s_endpgm
	.section	.rodata,"a",@progbits
	.p2align	6, 0x0
	.amdhsa_kernel _ZL18rocblas_rot_kernelIiLi512E19rocblas_complex_numIdEPKPS1_S4_PKdPKS1_EviT2_lllT3_lllT4_lT5_li
		.amdhsa_group_segment_fixed_size 0
		.amdhsa_private_segment_fixed_size 0
		.amdhsa_kernarg_size 368
		.amdhsa_user_sgpr_count 2
		.amdhsa_user_sgpr_dispatch_ptr 0
		.amdhsa_user_sgpr_queue_ptr 0
		.amdhsa_user_sgpr_kernarg_segment_ptr 1
		.amdhsa_user_sgpr_dispatch_id 0
		.amdhsa_user_sgpr_kernarg_preload_length 0
		.amdhsa_user_sgpr_kernarg_preload_offset 0
		.amdhsa_user_sgpr_private_segment_size 0
		.amdhsa_wavefront_size32 1
		.amdhsa_uses_dynamic_stack 0
		.amdhsa_enable_private_segment 0
		.amdhsa_system_sgpr_workgroup_id_x 1
		.amdhsa_system_sgpr_workgroup_id_y 0
		.amdhsa_system_sgpr_workgroup_id_z 1
		.amdhsa_system_sgpr_workgroup_info 0
		.amdhsa_system_vgpr_workitem_id 0
		.amdhsa_next_free_vgpr 32
		.amdhsa_next_free_sgpr 28
		.amdhsa_named_barrier_count 0
		.amdhsa_reserve_vcc 1
		.amdhsa_float_round_mode_32 0
		.amdhsa_float_round_mode_16_64 0
		.amdhsa_float_denorm_mode_32 3
		.amdhsa_float_denorm_mode_16_64 3
		.amdhsa_fp16_overflow 0
		.amdhsa_memory_ordered 1
		.amdhsa_forward_progress 1
		.amdhsa_inst_pref_size 5
		.amdhsa_round_robin_scheduling 0
		.amdhsa_exception_fp_ieee_invalid_op 0
		.amdhsa_exception_fp_denorm_src 0
		.amdhsa_exception_fp_ieee_div_zero 0
		.amdhsa_exception_fp_ieee_overflow 0
		.amdhsa_exception_fp_ieee_underflow 0
		.amdhsa_exception_fp_ieee_inexact 0
		.amdhsa_exception_int_div_zero 0
	.end_amdhsa_kernel
	.section	.text._ZL18rocblas_rot_kernelIiLi512E19rocblas_complex_numIdEPKPS1_S4_PKdPKS1_EviT2_lllT3_lllT4_lT5_li,"axG",@progbits,_ZL18rocblas_rot_kernelIiLi512E19rocblas_complex_numIdEPKPS1_S4_PKdPKS1_EviT2_lllT3_lllT4_lT5_li,comdat
.Lfunc_end38:
	.size	_ZL18rocblas_rot_kernelIiLi512E19rocblas_complex_numIdEPKPS1_S4_PKdPKS1_EviT2_lllT3_lllT4_lT5_li, .Lfunc_end38-_ZL18rocblas_rot_kernelIiLi512E19rocblas_complex_numIdEPKPS1_S4_PKdPKS1_EviT2_lllT3_lllT4_lT5_li
                                        ; -- End function
	.set _ZL18rocblas_rot_kernelIiLi512E19rocblas_complex_numIdEPKPS1_S4_PKdPKS1_EviT2_lllT3_lllT4_lT5_li.num_vgpr, 32
	.set _ZL18rocblas_rot_kernelIiLi512E19rocblas_complex_numIdEPKPS1_S4_PKdPKS1_EviT2_lllT3_lllT4_lT5_li.num_agpr, 0
	.set _ZL18rocblas_rot_kernelIiLi512E19rocblas_complex_numIdEPKPS1_S4_PKdPKS1_EviT2_lllT3_lllT4_lT5_li.numbered_sgpr, 28
	.set _ZL18rocblas_rot_kernelIiLi512E19rocblas_complex_numIdEPKPS1_S4_PKdPKS1_EviT2_lllT3_lllT4_lT5_li.num_named_barrier, 0
	.set _ZL18rocblas_rot_kernelIiLi512E19rocblas_complex_numIdEPKPS1_S4_PKdPKS1_EviT2_lllT3_lllT4_lT5_li.private_seg_size, 0
	.set _ZL18rocblas_rot_kernelIiLi512E19rocblas_complex_numIdEPKPS1_S4_PKdPKS1_EviT2_lllT3_lllT4_lT5_li.uses_vcc, 1
	.set _ZL18rocblas_rot_kernelIiLi512E19rocblas_complex_numIdEPKPS1_S4_PKdPKS1_EviT2_lllT3_lllT4_lT5_li.uses_flat_scratch, 0
	.set _ZL18rocblas_rot_kernelIiLi512E19rocblas_complex_numIdEPKPS1_S4_PKdPKS1_EviT2_lllT3_lllT4_lT5_li.has_dyn_sized_stack, 0
	.set _ZL18rocblas_rot_kernelIiLi512E19rocblas_complex_numIdEPKPS1_S4_PKdPKS1_EviT2_lllT3_lllT4_lT5_li.has_recursion, 0
	.set _ZL18rocblas_rot_kernelIiLi512E19rocblas_complex_numIdEPKPS1_S4_PKdPKS1_EviT2_lllT3_lllT4_lT5_li.has_indirect_call, 0
	.section	.AMDGPU.csdata,"",@progbits
; Kernel info:
; codeLenInByte = 516
; TotalNumSgprs: 30
; NumVgprs: 32
; ScratchSize: 0
; MemoryBound: 0
; FloatMode: 240
; IeeeMode: 1
; LDSByteSize: 0 bytes/workgroup (compile time only)
; SGPRBlocks: 0
; VGPRBlocks: 1
; NumSGPRsForWavesPerEU: 30
; NumVGPRsForWavesPerEU: 32
; NamedBarCnt: 0
; Occupancy: 16
; WaveLimiterHint : 1
; COMPUTE_PGM_RSRC2:SCRATCH_EN: 0
; COMPUTE_PGM_RSRC2:USER_SGPR: 2
; COMPUTE_PGM_RSRC2:TRAP_HANDLER: 0
; COMPUTE_PGM_RSRC2:TGID_X_EN: 1
; COMPUTE_PGM_RSRC2:TGID_Y_EN: 0
; COMPUTE_PGM_RSRC2:TGID_Z_EN: 1
; COMPUTE_PGM_RSRC2:TIDIG_COMP_CNT: 0
	.section	.text._ZL18rocblas_rot_kernelIiLi512E19rocblas_complex_numIdEPKPS1_S4_dS1_EviT2_lllT3_lllT4_lT5_li,"axG",@progbits,_ZL18rocblas_rot_kernelIiLi512E19rocblas_complex_numIdEPKPS1_S4_dS1_EviT2_lllT3_lllT4_lT5_li,comdat
	.globl	_ZL18rocblas_rot_kernelIiLi512E19rocblas_complex_numIdEPKPS1_S4_dS1_EviT2_lllT3_lllT4_lT5_li ; -- Begin function _ZL18rocblas_rot_kernelIiLi512E19rocblas_complex_numIdEPKPS1_S4_dS1_EviT2_lllT3_lllT4_lT5_li
	.p2align	8
	.type	_ZL18rocblas_rot_kernelIiLi512E19rocblas_complex_numIdEPKPS1_S4_dS1_EviT2_lllT3_lllT4_lT5_li,@function
_ZL18rocblas_rot_kernelIiLi512E19rocblas_complex_numIdEPKPS1_S4_dS1_EviT2_lllT3_lllT4_lT5_li: ; @_ZL18rocblas_rot_kernelIiLi512E19rocblas_complex_numIdEPKPS1_S4_dS1_EviT2_lllT3_lllT4_lT5_li
; %bb.0:
	s_load_b32 s16, s[0:1], 0x70
	s_bfe_u32 s2, ttmp6, 0x40014
	s_lshr_b32 s3, ttmp7, 16
	s_add_co_i32 s2, s2, 1
	s_bfe_u32 s5, ttmp6, 0x40008
	s_mul_i32 s4, s3, s2
	s_getreg_b32 s2, hwreg(HW_REG_IB_STS2, 6, 4)
	s_add_co_i32 s5, s5, s4
	s_cmp_eq_u32 s2, 0
	s_cselect_b32 s17, s3, s5
	s_wait_kmcnt 0x0
	s_cmp_ge_u32 s17, s16
	s_cbranch_scc1 .LBB39_5
; %bb.1:
	s_clause 0x2
	s_load_b32 s18, s[0:1], 0x0
	s_load_b32 s3, s[0:1], 0x84
	s_load_b128 s[4:7], s[0:1], 0x8
	s_bfe_u32 s8, ttmp6, 0x4000c
	s_clause 0x1
	s_load_b64 s[12:13], s[0:1], 0x18
	s_load_b64 s[14:15], s[0:1], 0x38
	s_add_co_i32 s8, s8, 1
	s_and_b32 s9, ttmp6, 15
	s_mul_i32 s8, ttmp9, s8
	v_mov_b32_e32 v5, 0
	s_add_co_i32 s9, s9, s8
	s_wait_kmcnt 0x0
	s_ashr_i32 s19, s18, 31
	s_and_b32 s3, s3, 0xffff
	s_cmp_eq_u32 s2, 0
	s_cselect_b32 s2, ttmp9, s9
	s_lshl_b64 s[6:7], s[6:7], 4
	v_mad_u32 v4, s2, s3, v0
	s_clause 0x1
	s_load_b128 s[8:11], s[0:1], 0x28
	s_load_b64 s[2:3], s[0:1], 0x48
	s_delay_alu instid0(VALU_DEP_1)
	v_mul_u64_e32 v[0:1], s[12:13], v[4:5]
	v_mul_u64_e32 v[2:3], s[14:15], v[4:5]
	s_load_b128 s[12:15], s[0:1], 0x58
	v_cmp_gt_i64_e32 vcc_lo, s[18:19], v[4:5]
	s_wait_kmcnt 0x0
	s_lshl_b64 s[0:1], s[10:11], 4
	s_branch .LBB39_3
.LBB39_2:                               ;   in Loop: Header=BB39_3 Depth=1
	s_wait_xcnt 0x0
	s_or_b32 exec_lo, exec_lo, s10
	s_add_co_i32 s17, s17, 0x10000
	s_delay_alu instid0(SALU_CYCLE_1)
	s_cmp_lt_u32 s17, s16
	s_cbranch_scc0 .LBB39_5
.LBB39_3:                               ; =>This Inner Loop Header: Depth=1
	s_and_saveexec_b32 s10, vcc_lo
	s_cbranch_execz .LBB39_2
; %bb.4:                                ;   in Loop: Header=BB39_3 Depth=1
	s_load_b64 s[18:19], s[8:9], s17 offset:0x0 scale_offset
	s_load_b64 s[20:21], s[4:5], s17 offset:0x0 scale_offset
	s_wait_kmcnt 0x0
	s_add_nc_u64 s[18:19], s[18:19], s[0:1]
	s_add_nc_u64 s[20:21], s[20:21], s[6:7]
	s_delay_alu instid0(VALU_DEP_2) | instskip(NEXT) | instid1(VALU_DEP_4)
	v_lshl_add_u64 v[16:17], v[2:3], 4, s[18:19]
	v_lshl_add_u64 v[18:19], v[0:1], 4, s[20:21]
	flat_load_b128 v[4:7], v[16:17]
	flat_load_b128 v[8:11], v[18:19]
	s_wait_loadcnt_dscnt 0x101
	v_mul_f64_e32 v[12:13], s[14:15], v[6:7]
	s_wait_loadcnt_dscnt 0x0
	v_mul_f64_e32 v[20:21], s[14:15], v[10:11]
	v_mul_f64_e32 v[22:23], s[14:15], v[8:9]
	;; [unrolled: 1-line block ×3, first 2 shown]
	s_delay_alu instid0(VALU_DEP_4) | instskip(NEXT) | instid1(VALU_DEP_4)
	v_fma_f64 v[12:13], s[12:13], v[4:5], -v[12:13]
	v_fmac_f64_e32 v[20:21], s[12:13], v[8:9]
	s_delay_alu instid0(VALU_DEP_4) | instskip(NEXT) | instid1(VALU_DEP_4)
	v_fma_f64 v[22:23], s[12:13], v[10:11], -v[22:23]
	v_fmac_f64_e32 v[14:15], s[14:15], v[4:5]
	s_delay_alu instid0(VALU_DEP_4) | instskip(NEXT) | instid1(VALU_DEP_4)
	v_fmac_f64_e32 v[12:13], s[2:3], v[8:9]
	v_fma_f64 v[4:5], s[2:3], v[4:5], -v[20:21]
	s_delay_alu instid0(VALU_DEP_4) | instskip(NEXT) | instid1(VALU_DEP_4)
	v_fma_f64 v[6:7], s[2:3], v[6:7], -v[22:23]
	v_fmac_f64_e32 v[14:15], s[2:3], v[10:11]
	flat_store_b128 v[16:17], v[4:7]
	flat_store_b128 v[18:19], v[12:15]
	s_branch .LBB39_2
.LBB39_5:
	s_endpgm
	.section	.rodata,"a",@progbits
	.p2align	6, 0x0
	.amdhsa_kernel _ZL18rocblas_rot_kernelIiLi512E19rocblas_complex_numIdEPKPS1_S4_dS1_EviT2_lllT3_lllT4_lT5_li
		.amdhsa_group_segment_fixed_size 0
		.amdhsa_private_segment_fixed_size 0
		.amdhsa_kernarg_size 376
		.amdhsa_user_sgpr_count 2
		.amdhsa_user_sgpr_dispatch_ptr 0
		.amdhsa_user_sgpr_queue_ptr 0
		.amdhsa_user_sgpr_kernarg_segment_ptr 1
		.amdhsa_user_sgpr_dispatch_id 0
		.amdhsa_user_sgpr_kernarg_preload_length 0
		.amdhsa_user_sgpr_kernarg_preload_offset 0
		.amdhsa_user_sgpr_private_segment_size 0
		.amdhsa_wavefront_size32 1
		.amdhsa_uses_dynamic_stack 0
		.amdhsa_enable_private_segment 0
		.amdhsa_system_sgpr_workgroup_id_x 1
		.amdhsa_system_sgpr_workgroup_id_y 0
		.amdhsa_system_sgpr_workgroup_id_z 1
		.amdhsa_system_sgpr_workgroup_info 0
		.amdhsa_system_vgpr_workitem_id 0
		.amdhsa_next_free_vgpr 24
		.amdhsa_next_free_sgpr 22
		.amdhsa_named_barrier_count 0
		.amdhsa_reserve_vcc 1
		.amdhsa_float_round_mode_32 0
		.amdhsa_float_round_mode_16_64 0
		.amdhsa_float_denorm_mode_32 3
		.amdhsa_float_denorm_mode_16_64 3
		.amdhsa_fp16_overflow 0
		.amdhsa_memory_ordered 1
		.amdhsa_forward_progress 1
		.amdhsa_inst_pref_size 4
		.amdhsa_round_robin_scheduling 0
		.amdhsa_exception_fp_ieee_invalid_op 0
		.amdhsa_exception_fp_denorm_src 0
		.amdhsa_exception_fp_ieee_div_zero 0
		.amdhsa_exception_fp_ieee_overflow 0
		.amdhsa_exception_fp_ieee_underflow 0
		.amdhsa_exception_fp_ieee_inexact 0
		.amdhsa_exception_int_div_zero 0
	.end_amdhsa_kernel
	.section	.text._ZL18rocblas_rot_kernelIiLi512E19rocblas_complex_numIdEPKPS1_S4_dS1_EviT2_lllT3_lllT4_lT5_li,"axG",@progbits,_ZL18rocblas_rot_kernelIiLi512E19rocblas_complex_numIdEPKPS1_S4_dS1_EviT2_lllT3_lllT4_lT5_li,comdat
.Lfunc_end39:
	.size	_ZL18rocblas_rot_kernelIiLi512E19rocblas_complex_numIdEPKPS1_S4_dS1_EviT2_lllT3_lllT4_lT5_li, .Lfunc_end39-_ZL18rocblas_rot_kernelIiLi512E19rocblas_complex_numIdEPKPS1_S4_dS1_EviT2_lllT3_lllT4_lT5_li
                                        ; -- End function
	.set _ZL18rocblas_rot_kernelIiLi512E19rocblas_complex_numIdEPKPS1_S4_dS1_EviT2_lllT3_lllT4_lT5_li.num_vgpr, 24
	.set _ZL18rocblas_rot_kernelIiLi512E19rocblas_complex_numIdEPKPS1_S4_dS1_EviT2_lllT3_lllT4_lT5_li.num_agpr, 0
	.set _ZL18rocblas_rot_kernelIiLi512E19rocblas_complex_numIdEPKPS1_S4_dS1_EviT2_lllT3_lllT4_lT5_li.numbered_sgpr, 22
	.set _ZL18rocblas_rot_kernelIiLi512E19rocblas_complex_numIdEPKPS1_S4_dS1_EviT2_lllT3_lllT4_lT5_li.num_named_barrier, 0
	.set _ZL18rocblas_rot_kernelIiLi512E19rocblas_complex_numIdEPKPS1_S4_dS1_EviT2_lllT3_lllT4_lT5_li.private_seg_size, 0
	.set _ZL18rocblas_rot_kernelIiLi512E19rocblas_complex_numIdEPKPS1_S4_dS1_EviT2_lllT3_lllT4_lT5_li.uses_vcc, 1
	.set _ZL18rocblas_rot_kernelIiLi512E19rocblas_complex_numIdEPKPS1_S4_dS1_EviT2_lllT3_lllT4_lT5_li.uses_flat_scratch, 0
	.set _ZL18rocblas_rot_kernelIiLi512E19rocblas_complex_numIdEPKPS1_S4_dS1_EviT2_lllT3_lllT4_lT5_li.has_dyn_sized_stack, 0
	.set _ZL18rocblas_rot_kernelIiLi512E19rocblas_complex_numIdEPKPS1_S4_dS1_EviT2_lllT3_lllT4_lT5_li.has_recursion, 0
	.set _ZL18rocblas_rot_kernelIiLi512E19rocblas_complex_numIdEPKPS1_S4_dS1_EviT2_lllT3_lllT4_lT5_li.has_indirect_call, 0
	.section	.AMDGPU.csdata,"",@progbits
; Kernel info:
; codeLenInByte = 460
; TotalNumSgprs: 24
; NumVgprs: 24
; ScratchSize: 0
; MemoryBound: 0
; FloatMode: 240
; IeeeMode: 1
; LDSByteSize: 0 bytes/workgroup (compile time only)
; SGPRBlocks: 0
; VGPRBlocks: 1
; NumSGPRsForWavesPerEU: 24
; NumVGPRsForWavesPerEU: 24
; NamedBarCnt: 0
; Occupancy: 16
; WaveLimiterHint : 1
; COMPUTE_PGM_RSRC2:SCRATCH_EN: 0
; COMPUTE_PGM_RSRC2:USER_SGPR: 2
; COMPUTE_PGM_RSRC2:TRAP_HANDLER: 0
; COMPUTE_PGM_RSRC2:TGID_X_EN: 1
; COMPUTE_PGM_RSRC2:TGID_Y_EN: 0
; COMPUTE_PGM_RSRC2:TGID_Z_EN: 1
; COMPUTE_PGM_RSRC2:TIDIG_COMP_CNT: 0
	.section	.AMDGPU.gpr_maximums,"",@progbits
	.set amdgpu.max_num_vgpr, 0
	.set amdgpu.max_num_agpr, 0
	.set amdgpu.max_num_sgpr, 0
	.section	.AMDGPU.csdata,"",@progbits
	.type	__hip_cuid_a284cf511d99412c,@object ; @__hip_cuid_a284cf511d99412c
	.section	.bss,"aw",@nobits
	.globl	__hip_cuid_a284cf511d99412c
__hip_cuid_a284cf511d99412c:
	.byte	0                               ; 0x0
	.size	__hip_cuid_a284cf511d99412c, 1

	.ident	"AMD clang version 22.0.0git (https://github.com/RadeonOpenCompute/llvm-project roc-7.2.4 26084 f58b06dce1f9c15707c5f808fd002e18c2accf7e)"
	.section	".note.GNU-stack","",@progbits
	.addrsig
	.addrsig_sym __hip_cuid_a284cf511d99412c
	.amdgpu_metadata
---
amdhsa.kernels:
  - .args:
      - .offset:         0
        .size:           4
        .value_kind:     by_value
      - .address_space:  global
        .offset:         8
        .size:           8
        .value_kind:     global_buffer
      - .offset:         16
        .size:           8
        .value_kind:     by_value
      - .offset:         24
        .size:           8
        .value_kind:     by_value
      - .offset:         32
        .size:           8
        .value_kind:     by_value
      - .address_space:  global
        .offset:         40
        .size:           8
        .value_kind:     global_buffer
      - .offset:         48
        .size:           8
        .value_kind:     by_value
      - .offset:         56
        .size:           8
        .value_kind:     by_value
      - .offset:         64
        .size:           8
        .value_kind:     by_value
      - .address_space:  global
        .offset:         72
        .size:           8
        .value_kind:     global_buffer
      - .offset:         80
        .size:           8
        .value_kind:     by_value
      - .address_space:  global
        .offset:         88
        .size:           8
        .value_kind:     global_buffer
      - .offset:         96
        .size:           8
        .value_kind:     by_value
      - .offset:         104
        .size:           4
        .value_kind:     by_value
      - .offset:         112
        .size:           4
        .value_kind:     hidden_block_count_x
      - .offset:         116
        .size:           4
        .value_kind:     hidden_block_count_y
      - .offset:         120
        .size:           4
        .value_kind:     hidden_block_count_z
      - .offset:         124
        .size:           2
        .value_kind:     hidden_group_size_x
      - .offset:         126
        .size:           2
        .value_kind:     hidden_group_size_y
      - .offset:         128
        .size:           2
        .value_kind:     hidden_group_size_z
      - .offset:         130
        .size:           2
        .value_kind:     hidden_remainder_x
      - .offset:         132
        .size:           2
        .value_kind:     hidden_remainder_y
      - .offset:         134
        .size:           2
        .value_kind:     hidden_remainder_z
      - .offset:         152
        .size:           8
        .value_kind:     hidden_global_offset_x
      - .offset:         160
        .size:           8
        .value_kind:     hidden_global_offset_y
      - .offset:         168
        .size:           8
        .value_kind:     hidden_global_offset_z
      - .offset:         176
        .size:           2
        .value_kind:     hidden_grid_dims
    .group_segment_fixed_size: 0
    .kernarg_segment_align: 8
    .kernarg_segment_size: 368
    .language:       OpenCL C
    .language_version:
      - 2
      - 0
    .max_flat_workgroup_size: 512
    .name:           _ZL18rocblas_rot_kernelIiLi512EfPfS0_PKfS2_EviT2_lllT3_lllT4_lT5_li
    .private_segment_fixed_size: 0
    .sgpr_count:     34
    .sgpr_spill_count: 0
    .symbol:         _ZL18rocblas_rot_kernelIiLi512EfPfS0_PKfS2_EviT2_lllT3_lllT4_lT5_li.kd
    .uniform_work_group_size: 1
    .uses_dynamic_stack: false
    .vgpr_count:     16
    .vgpr_spill_count: 0
    .wavefront_size: 32
  - .args:
      - .offset:         0
        .size:           4
        .value_kind:     by_value
      - .address_space:  global
        .offset:         8
        .size:           8
        .value_kind:     global_buffer
      - .offset:         16
        .size:           8
        .value_kind:     by_value
      - .offset:         24
        .size:           8
        .value_kind:     by_value
      - .offset:         32
        .size:           8
        .value_kind:     by_value
      - .address_space:  global
        .offset:         40
        .size:           8
        .value_kind:     global_buffer
      - .offset:         48
        .size:           8
        .value_kind:     by_value
      - .offset:         56
        .size:           8
        .value_kind:     by_value
      - .offset:         64
        .size:           8
        .value_kind:     by_value
      - .offset:         72
        .size:           4
        .value_kind:     by_value
      - .offset:         80
        .size:           8
        .value_kind:     by_value
      - .offset:         88
        .size:           4
        .value_kind:     by_value
      - .offset:         96
        .size:           8
        .value_kind:     by_value
      - .offset:         104
        .size:           4
        .value_kind:     by_value
      - .offset:         112
        .size:           4
        .value_kind:     hidden_block_count_x
      - .offset:         116
        .size:           4
        .value_kind:     hidden_block_count_y
      - .offset:         120
        .size:           4
        .value_kind:     hidden_block_count_z
      - .offset:         124
        .size:           2
        .value_kind:     hidden_group_size_x
      - .offset:         126
        .size:           2
        .value_kind:     hidden_group_size_y
      - .offset:         128
        .size:           2
        .value_kind:     hidden_group_size_z
      - .offset:         130
        .size:           2
        .value_kind:     hidden_remainder_x
      - .offset:         132
        .size:           2
        .value_kind:     hidden_remainder_y
      - .offset:         134
        .size:           2
        .value_kind:     hidden_remainder_z
      - .offset:         152
        .size:           8
        .value_kind:     hidden_global_offset_x
      - .offset:         160
        .size:           8
        .value_kind:     hidden_global_offset_y
      - .offset:         168
        .size:           8
        .value_kind:     hidden_global_offset_z
      - .offset:         176
        .size:           2
        .value_kind:     hidden_grid_dims
    .group_segment_fixed_size: 0
    .kernarg_segment_align: 8
    .kernarg_segment_size: 368
    .language:       OpenCL C
    .language_version:
      - 2
      - 0
    .max_flat_workgroup_size: 512
    .name:           _ZL18rocblas_rot_kernelIiLi512EfPfS0_ffEviT2_lllT3_lllT4_lT5_li
    .private_segment_fixed_size: 0
    .sgpr_count:     30
    .sgpr_spill_count: 0
    .symbol:         _ZL18rocblas_rot_kernelIiLi512EfPfS0_ffEviT2_lllT3_lllT4_lT5_li.kd
    .uniform_work_group_size: 1
    .uses_dynamic_stack: false
    .vgpr_count:     14
    .vgpr_spill_count: 0
    .wavefront_size: 32
  - .args:
      - .offset:         0
        .size:           4
        .value_kind:     by_value
      - .address_space:  global
        .offset:         8
        .size:           8
        .value_kind:     global_buffer
      - .offset:         16
        .size:           8
        .value_kind:     by_value
      - .offset:         24
        .size:           8
        .value_kind:     by_value
      - .offset:         32
        .size:           8
        .value_kind:     by_value
      - .address_space:  global
        .offset:         40
        .size:           8
        .value_kind:     global_buffer
      - .offset:         48
        .size:           8
        .value_kind:     by_value
      - .offset:         56
        .size:           8
        .value_kind:     by_value
      - .offset:         64
        .size:           8
        .value_kind:     by_value
      - .address_space:  global
        .offset:         72
        .size:           8
        .value_kind:     global_buffer
      - .offset:         80
        .size:           8
        .value_kind:     by_value
      - .address_space:  global
        .offset:         88
        .size:           8
        .value_kind:     global_buffer
      - .offset:         96
        .size:           8
        .value_kind:     by_value
      - .offset:         104
        .size:           4
        .value_kind:     by_value
      - .offset:         112
        .size:           4
        .value_kind:     hidden_block_count_x
      - .offset:         116
        .size:           4
        .value_kind:     hidden_block_count_y
      - .offset:         120
        .size:           4
        .value_kind:     hidden_block_count_z
      - .offset:         124
        .size:           2
        .value_kind:     hidden_group_size_x
      - .offset:         126
        .size:           2
        .value_kind:     hidden_group_size_y
      - .offset:         128
        .size:           2
        .value_kind:     hidden_group_size_z
      - .offset:         130
        .size:           2
        .value_kind:     hidden_remainder_x
      - .offset:         132
        .size:           2
        .value_kind:     hidden_remainder_y
      - .offset:         134
        .size:           2
        .value_kind:     hidden_remainder_z
      - .offset:         152
        .size:           8
        .value_kind:     hidden_global_offset_x
      - .offset:         160
        .size:           8
        .value_kind:     hidden_global_offset_y
      - .offset:         168
        .size:           8
        .value_kind:     hidden_global_offset_z
      - .offset:         176
        .size:           2
        .value_kind:     hidden_grid_dims
    .group_segment_fixed_size: 0
    .kernarg_segment_align: 8
    .kernarg_segment_size: 368
    .language:       OpenCL C
    .language_version:
      - 2
      - 0
    .max_flat_workgroup_size: 512
    .name:           _ZL18rocblas_rot_kernelIiLi512EdPdS0_PKdS2_EviT2_lllT3_lllT4_lT5_li
    .private_segment_fixed_size: 0
    .sgpr_count:     34
    .sgpr_spill_count: 0
    .symbol:         _ZL18rocblas_rot_kernelIiLi512EdPdS0_PKdS2_EviT2_lllT3_lllT4_lT5_li.kd
    .uniform_work_group_size: 1
    .uses_dynamic_stack: false
    .vgpr_count:     20
    .vgpr_spill_count: 0
    .wavefront_size: 32
  - .args:
      - .offset:         0
        .size:           4
        .value_kind:     by_value
      - .address_space:  global
        .offset:         8
        .size:           8
        .value_kind:     global_buffer
      - .offset:         16
        .size:           8
        .value_kind:     by_value
      - .offset:         24
        .size:           8
        .value_kind:     by_value
      - .offset:         32
        .size:           8
        .value_kind:     by_value
      - .address_space:  global
        .offset:         40
        .size:           8
        .value_kind:     global_buffer
      - .offset:         48
        .size:           8
        .value_kind:     by_value
      - .offset:         56
        .size:           8
        .value_kind:     by_value
      - .offset:         64
        .size:           8
        .value_kind:     by_value
      - .offset:         72
        .size:           8
        .value_kind:     by_value
      - .offset:         80
        .size:           8
        .value_kind:     by_value
      - .offset:         88
        .size:           8
        .value_kind:     by_value
      - .offset:         96
        .size:           8
        .value_kind:     by_value
      - .offset:         104
        .size:           4
        .value_kind:     by_value
      - .offset:         112
        .size:           4
        .value_kind:     hidden_block_count_x
      - .offset:         116
        .size:           4
        .value_kind:     hidden_block_count_y
      - .offset:         120
        .size:           4
        .value_kind:     hidden_block_count_z
      - .offset:         124
        .size:           2
        .value_kind:     hidden_group_size_x
      - .offset:         126
        .size:           2
        .value_kind:     hidden_group_size_y
      - .offset:         128
        .size:           2
        .value_kind:     hidden_group_size_z
      - .offset:         130
        .size:           2
        .value_kind:     hidden_remainder_x
      - .offset:         132
        .size:           2
        .value_kind:     hidden_remainder_y
      - .offset:         134
        .size:           2
        .value_kind:     hidden_remainder_z
      - .offset:         152
        .size:           8
        .value_kind:     hidden_global_offset_x
      - .offset:         160
        .size:           8
        .value_kind:     hidden_global_offset_y
      - .offset:         168
        .size:           8
        .value_kind:     hidden_global_offset_z
      - .offset:         176
        .size:           2
        .value_kind:     hidden_grid_dims
    .group_segment_fixed_size: 0
    .kernarg_segment_align: 8
    .kernarg_segment_size: 368
    .language:       OpenCL C
    .language_version:
      - 2
      - 0
    .max_flat_workgroup_size: 512
    .name:           _ZL18rocblas_rot_kernelIiLi512EdPdS0_ddEviT2_lllT3_lllT4_lT5_li
    .private_segment_fixed_size: 0
    .sgpr_count:     30
    .sgpr_spill_count: 0
    .symbol:         _ZL18rocblas_rot_kernelIiLi512EdPdS0_ddEviT2_lllT3_lllT4_lT5_li.kd
    .uniform_work_group_size: 1
    .uses_dynamic_stack: false
    .vgpr_count:     16
    .vgpr_spill_count: 0
    .wavefront_size: 32
  - .args:
      - .offset:         0
        .size:           4
        .value_kind:     by_value
      - .address_space:  global
        .offset:         8
        .size:           8
        .value_kind:     global_buffer
      - .offset:         16
        .size:           8
        .value_kind:     by_value
      - .offset:         24
        .size:           8
        .value_kind:     by_value
      - .offset:         32
        .size:           8
        .value_kind:     by_value
      - .address_space:  global
        .offset:         40
        .size:           8
        .value_kind:     global_buffer
      - .offset:         48
        .size:           8
        .value_kind:     by_value
      - .offset:         56
        .size:           8
        .value_kind:     by_value
      - .offset:         64
        .size:           8
        .value_kind:     by_value
      - .address_space:  global
        .offset:         72
        .size:           8
        .value_kind:     global_buffer
      - .offset:         80
        .size:           8
        .value_kind:     by_value
      - .address_space:  global
        .offset:         88
        .size:           8
        .value_kind:     global_buffer
      - .offset:         96
        .size:           8
        .value_kind:     by_value
      - .offset:         104
        .size:           4
        .value_kind:     by_value
      - .offset:         112
        .size:           4
        .value_kind:     hidden_block_count_x
      - .offset:         116
        .size:           4
        .value_kind:     hidden_block_count_y
      - .offset:         120
        .size:           4
        .value_kind:     hidden_block_count_z
      - .offset:         124
        .size:           2
        .value_kind:     hidden_group_size_x
      - .offset:         126
        .size:           2
        .value_kind:     hidden_group_size_y
      - .offset:         128
        .size:           2
        .value_kind:     hidden_group_size_z
      - .offset:         130
        .size:           2
        .value_kind:     hidden_remainder_x
      - .offset:         132
        .size:           2
        .value_kind:     hidden_remainder_y
      - .offset:         134
        .size:           2
        .value_kind:     hidden_remainder_z
      - .offset:         152
        .size:           8
        .value_kind:     hidden_global_offset_x
      - .offset:         160
        .size:           8
        .value_kind:     hidden_global_offset_y
      - .offset:         168
        .size:           8
        .value_kind:     hidden_global_offset_z
      - .offset:         176
        .size:           2
        .value_kind:     hidden_grid_dims
    .group_segment_fixed_size: 0
    .kernarg_segment_align: 8
    .kernarg_segment_size: 368
    .language:       OpenCL C
    .language_version:
      - 2
      - 0
    .max_flat_workgroup_size: 512
    .name:           _ZL18rocblas_rot_kernelIiLi512EfP16rocblas_bfloat16S1_PKS0_S3_EviT2_lllT3_lllT4_lT5_li
    .private_segment_fixed_size: 0
    .sgpr_count:     34
    .sgpr_spill_count: 0
    .symbol:         _ZL18rocblas_rot_kernelIiLi512EfP16rocblas_bfloat16S1_PKS0_S3_EviT2_lllT3_lllT4_lT5_li.kd
    .uniform_work_group_size: 1
    .uses_dynamic_stack: false
    .vgpr_count:     19
    .vgpr_spill_count: 0
    .wavefront_size: 32
  - .args:
      - .offset:         0
        .size:           4
        .value_kind:     by_value
      - .address_space:  global
        .offset:         8
        .size:           8
        .value_kind:     global_buffer
      - .offset:         16
        .size:           8
        .value_kind:     by_value
      - .offset:         24
        .size:           8
        .value_kind:     by_value
      - .offset:         32
        .size:           8
        .value_kind:     by_value
      - .address_space:  global
        .offset:         40
        .size:           8
        .value_kind:     global_buffer
      - .offset:         48
        .size:           8
        .value_kind:     by_value
      - .offset:         56
        .size:           8
        .value_kind:     by_value
      - .offset:         64
        .size:           8
        .value_kind:     by_value
      - .offset:         72
        .size:           2
        .value_kind:     by_value
      - .offset:         80
        .size:           8
        .value_kind:     by_value
      - .offset:         88
        .size:           2
        .value_kind:     by_value
      - .offset:         96
        .size:           8
        .value_kind:     by_value
      - .offset:         104
        .size:           4
        .value_kind:     by_value
      - .offset:         112
        .size:           4
        .value_kind:     hidden_block_count_x
      - .offset:         116
        .size:           4
        .value_kind:     hidden_block_count_y
      - .offset:         120
        .size:           4
        .value_kind:     hidden_block_count_z
      - .offset:         124
        .size:           2
        .value_kind:     hidden_group_size_x
      - .offset:         126
        .size:           2
        .value_kind:     hidden_group_size_y
      - .offset:         128
        .size:           2
        .value_kind:     hidden_group_size_z
      - .offset:         130
        .size:           2
        .value_kind:     hidden_remainder_x
      - .offset:         132
        .size:           2
        .value_kind:     hidden_remainder_y
      - .offset:         134
        .size:           2
        .value_kind:     hidden_remainder_z
      - .offset:         152
        .size:           8
        .value_kind:     hidden_global_offset_x
      - .offset:         160
        .size:           8
        .value_kind:     hidden_global_offset_y
      - .offset:         168
        .size:           8
        .value_kind:     hidden_global_offset_z
      - .offset:         176
        .size:           2
        .value_kind:     hidden_grid_dims
    .group_segment_fixed_size: 0
    .kernarg_segment_align: 8
    .kernarg_segment_size: 368
    .language:       OpenCL C
    .language_version:
      - 2
      - 0
    .max_flat_workgroup_size: 512
    .name:           _ZL18rocblas_rot_kernelIiLi512EfP16rocblas_bfloat16S1_S0_S0_EviT2_lllT3_lllT4_lT5_li
    .private_segment_fixed_size: 0
    .sgpr_count:     28
    .sgpr_spill_count: 0
    .symbol:         _ZL18rocblas_rot_kernelIiLi512EfP16rocblas_bfloat16S1_S0_S0_EviT2_lllT3_lllT4_lT5_li.kd
    .uniform_work_group_size: 1
    .uses_dynamic_stack: false
    .vgpr_count:     14
    .vgpr_spill_count: 0
    .wavefront_size: 32
  - .args:
      - .offset:         0
        .size:           4
        .value_kind:     by_value
      - .address_space:  global
        .offset:         8
        .size:           8
        .value_kind:     global_buffer
      - .offset:         16
        .size:           8
        .value_kind:     by_value
      - .offset:         24
        .size:           8
        .value_kind:     by_value
      - .offset:         32
        .size:           8
        .value_kind:     by_value
      - .address_space:  global
        .offset:         40
        .size:           8
        .value_kind:     global_buffer
      - .offset:         48
        .size:           8
        .value_kind:     by_value
      - .offset:         56
        .size:           8
        .value_kind:     by_value
      - .offset:         64
        .size:           8
        .value_kind:     by_value
      - .address_space:  global
        .offset:         72
        .size:           8
        .value_kind:     global_buffer
      - .offset:         80
        .size:           8
        .value_kind:     by_value
      - .address_space:  global
        .offset:         88
        .size:           8
        .value_kind:     global_buffer
      - .offset:         96
        .size:           8
        .value_kind:     by_value
      - .offset:         104
        .size:           4
        .value_kind:     by_value
      - .offset:         112
        .size:           4
        .value_kind:     hidden_block_count_x
      - .offset:         116
        .size:           4
        .value_kind:     hidden_block_count_y
      - .offset:         120
        .size:           4
        .value_kind:     hidden_block_count_z
      - .offset:         124
        .size:           2
        .value_kind:     hidden_group_size_x
      - .offset:         126
        .size:           2
        .value_kind:     hidden_group_size_y
      - .offset:         128
        .size:           2
        .value_kind:     hidden_group_size_z
      - .offset:         130
        .size:           2
        .value_kind:     hidden_remainder_x
      - .offset:         132
        .size:           2
        .value_kind:     hidden_remainder_y
      - .offset:         134
        .size:           2
        .value_kind:     hidden_remainder_z
      - .offset:         152
        .size:           8
        .value_kind:     hidden_global_offset_x
      - .offset:         160
        .size:           8
        .value_kind:     hidden_global_offset_y
      - .offset:         168
        .size:           8
        .value_kind:     hidden_global_offset_z
      - .offset:         176
        .size:           2
        .value_kind:     hidden_grid_dims
    .group_segment_fixed_size: 0
    .kernarg_segment_align: 8
    .kernarg_segment_size: 368
    .language:       OpenCL C
    .language_version:
      - 2
      - 0
    .max_flat_workgroup_size: 512
    .name:           _ZL18rocblas_rot_kernelIiLi512EfPDF16_S0_PKDF16_S2_EviT2_lllT3_lllT4_lT5_li
    .private_segment_fixed_size: 0
    .sgpr_count:     34
    .sgpr_spill_count: 0
    .symbol:         _ZL18rocblas_rot_kernelIiLi512EfPDF16_S0_PKDF16_S2_EviT2_lllT3_lllT4_lT5_li.kd
    .uniform_work_group_size: 1
    .uses_dynamic_stack: false
    .vgpr_count:     14
    .vgpr_spill_count: 0
    .wavefront_size: 32
  - .args:
      - .offset:         0
        .size:           4
        .value_kind:     by_value
      - .address_space:  global
        .offset:         8
        .size:           8
        .value_kind:     global_buffer
      - .offset:         16
        .size:           8
        .value_kind:     by_value
      - .offset:         24
        .size:           8
        .value_kind:     by_value
      - .offset:         32
        .size:           8
        .value_kind:     by_value
      - .address_space:  global
        .offset:         40
        .size:           8
        .value_kind:     global_buffer
      - .offset:         48
        .size:           8
        .value_kind:     by_value
      - .offset:         56
        .size:           8
        .value_kind:     by_value
      - .offset:         64
        .size:           8
        .value_kind:     by_value
      - .offset:         72
        .size:           2
        .value_kind:     by_value
      - .offset:         80
        .size:           8
        .value_kind:     by_value
      - .offset:         88
        .size:           2
        .value_kind:     by_value
      - .offset:         96
        .size:           8
        .value_kind:     by_value
      - .offset:         104
        .size:           4
        .value_kind:     by_value
      - .offset:         112
        .size:           4
        .value_kind:     hidden_block_count_x
      - .offset:         116
        .size:           4
        .value_kind:     hidden_block_count_y
      - .offset:         120
        .size:           4
        .value_kind:     hidden_block_count_z
      - .offset:         124
        .size:           2
        .value_kind:     hidden_group_size_x
      - .offset:         126
        .size:           2
        .value_kind:     hidden_group_size_y
      - .offset:         128
        .size:           2
        .value_kind:     hidden_group_size_z
      - .offset:         130
        .size:           2
        .value_kind:     hidden_remainder_x
      - .offset:         132
        .size:           2
        .value_kind:     hidden_remainder_y
      - .offset:         134
        .size:           2
        .value_kind:     hidden_remainder_z
      - .offset:         152
        .size:           8
        .value_kind:     hidden_global_offset_x
      - .offset:         160
        .size:           8
        .value_kind:     hidden_global_offset_y
      - .offset:         168
        .size:           8
        .value_kind:     hidden_global_offset_z
      - .offset:         176
        .size:           2
        .value_kind:     hidden_grid_dims
    .group_segment_fixed_size: 0
    .kernarg_segment_align: 8
    .kernarg_segment_size: 368
    .language:       OpenCL C
    .language_version:
      - 2
      - 0
    .max_flat_workgroup_size: 512
    .name:           _ZL18rocblas_rot_kernelIiLi512EfPDF16_S0_DF16_DF16_EviT2_lllT3_lllT4_lT5_li
    .private_segment_fixed_size: 0
    .sgpr_count:     30
    .sgpr_spill_count: 0
    .symbol:         _ZL18rocblas_rot_kernelIiLi512EfPDF16_S0_DF16_DF16_EviT2_lllT3_lllT4_lT5_li.kd
    .uniform_work_group_size: 1
    .uses_dynamic_stack: false
    .vgpr_count:     12
    .vgpr_spill_count: 0
    .wavefront_size: 32
  - .args:
      - .offset:         0
        .size:           4
        .value_kind:     by_value
      - .address_space:  global
        .offset:         8
        .size:           8
        .value_kind:     global_buffer
      - .offset:         16
        .size:           8
        .value_kind:     by_value
      - .offset:         24
        .size:           8
        .value_kind:     by_value
      - .offset:         32
        .size:           8
        .value_kind:     by_value
      - .address_space:  global
        .offset:         40
        .size:           8
        .value_kind:     global_buffer
      - .offset:         48
        .size:           8
        .value_kind:     by_value
      - .offset:         56
        .size:           8
        .value_kind:     by_value
      - .offset:         64
        .size:           8
        .value_kind:     by_value
      - .address_space:  global
        .offset:         72
        .size:           8
        .value_kind:     global_buffer
      - .offset:         80
        .size:           8
        .value_kind:     by_value
      - .address_space:  global
        .offset:         88
        .size:           8
        .value_kind:     global_buffer
      - .offset:         96
        .size:           8
        .value_kind:     by_value
      - .offset:         104
        .size:           4
        .value_kind:     by_value
      - .offset:         112
        .size:           4
        .value_kind:     hidden_block_count_x
      - .offset:         116
        .size:           4
        .value_kind:     hidden_block_count_y
      - .offset:         120
        .size:           4
        .value_kind:     hidden_block_count_z
      - .offset:         124
        .size:           2
        .value_kind:     hidden_group_size_x
      - .offset:         126
        .size:           2
        .value_kind:     hidden_group_size_y
      - .offset:         128
        .size:           2
        .value_kind:     hidden_group_size_z
      - .offset:         130
        .size:           2
        .value_kind:     hidden_remainder_x
      - .offset:         132
        .size:           2
        .value_kind:     hidden_remainder_y
      - .offset:         134
        .size:           2
        .value_kind:     hidden_remainder_z
      - .offset:         152
        .size:           8
        .value_kind:     hidden_global_offset_x
      - .offset:         160
        .size:           8
        .value_kind:     hidden_global_offset_y
      - .offset:         168
        .size:           8
        .value_kind:     hidden_global_offset_z
      - .offset:         176
        .size:           2
        .value_kind:     hidden_grid_dims
    .group_segment_fixed_size: 0
    .kernarg_segment_align: 8
    .kernarg_segment_size: 368
    .language:       OpenCL C
    .language_version:
      - 2
      - 0
    .max_flat_workgroup_size: 512
    .name:           _ZL18rocblas_rot_kernelIiLi512E19rocblas_complex_numIfEPS1_S2_PKfS4_EviT2_lllT3_lllT4_lT5_li
    .private_segment_fixed_size: 0
    .sgpr_count:     34
    .sgpr_spill_count: 0
    .symbol:         _ZL18rocblas_rot_kernelIiLi512E19rocblas_complex_numIfEPS1_S2_PKfS4_EviT2_lllT3_lllT4_lT5_li.kd
    .uniform_work_group_size: 1
    .uses_dynamic_stack: false
    .vgpr_count:     20
    .vgpr_spill_count: 0
    .wavefront_size: 32
  - .args:
      - .offset:         0
        .size:           4
        .value_kind:     by_value
      - .address_space:  global
        .offset:         8
        .size:           8
        .value_kind:     global_buffer
      - .offset:         16
        .size:           8
        .value_kind:     by_value
      - .offset:         24
        .size:           8
        .value_kind:     by_value
      - .offset:         32
        .size:           8
        .value_kind:     by_value
      - .address_space:  global
        .offset:         40
        .size:           8
        .value_kind:     global_buffer
      - .offset:         48
        .size:           8
        .value_kind:     by_value
      - .offset:         56
        .size:           8
        .value_kind:     by_value
      - .offset:         64
        .size:           8
        .value_kind:     by_value
      - .offset:         72
        .size:           4
        .value_kind:     by_value
      - .offset:         80
        .size:           8
        .value_kind:     by_value
      - .offset:         88
        .size:           4
        .value_kind:     by_value
      - .offset:         96
        .size:           8
        .value_kind:     by_value
      - .offset:         104
        .size:           4
        .value_kind:     by_value
      - .offset:         112
        .size:           4
        .value_kind:     hidden_block_count_x
      - .offset:         116
        .size:           4
        .value_kind:     hidden_block_count_y
      - .offset:         120
        .size:           4
        .value_kind:     hidden_block_count_z
      - .offset:         124
        .size:           2
        .value_kind:     hidden_group_size_x
      - .offset:         126
        .size:           2
        .value_kind:     hidden_group_size_y
      - .offset:         128
        .size:           2
        .value_kind:     hidden_group_size_z
      - .offset:         130
        .size:           2
        .value_kind:     hidden_remainder_x
      - .offset:         132
        .size:           2
        .value_kind:     hidden_remainder_y
      - .offset:         134
        .size:           2
        .value_kind:     hidden_remainder_z
      - .offset:         152
        .size:           8
        .value_kind:     hidden_global_offset_x
      - .offset:         160
        .size:           8
        .value_kind:     hidden_global_offset_y
      - .offset:         168
        .size:           8
        .value_kind:     hidden_global_offset_z
      - .offset:         176
        .size:           2
        .value_kind:     hidden_grid_dims
    .group_segment_fixed_size: 0
    .kernarg_segment_align: 8
    .kernarg_segment_size: 368
    .language:       OpenCL C
    .language_version:
      - 2
      - 0
    .max_flat_workgroup_size: 512
    .name:           _ZL18rocblas_rot_kernelIiLi512E19rocblas_complex_numIfEPS1_S2_ffEviT2_lllT3_lllT4_lT5_li
    .private_segment_fixed_size: 0
    .sgpr_count:     30
    .sgpr_spill_count: 0
    .symbol:         _ZL18rocblas_rot_kernelIiLi512E19rocblas_complex_numIfEPS1_S2_ffEviT2_lllT3_lllT4_lT5_li.kd
    .uniform_work_group_size: 1
    .uses_dynamic_stack: false
    .vgpr_count:     18
    .vgpr_spill_count: 0
    .wavefront_size: 32
  - .args:
      - .offset:         0
        .size:           4
        .value_kind:     by_value
      - .address_space:  global
        .offset:         8
        .size:           8
        .value_kind:     global_buffer
      - .offset:         16
        .size:           8
        .value_kind:     by_value
      - .offset:         24
        .size:           8
        .value_kind:     by_value
      - .offset:         32
        .size:           8
        .value_kind:     by_value
      - .address_space:  global
        .offset:         40
        .size:           8
        .value_kind:     global_buffer
      - .offset:         48
        .size:           8
        .value_kind:     by_value
      - .offset:         56
        .size:           8
        .value_kind:     by_value
      - .offset:         64
        .size:           8
        .value_kind:     by_value
      - .address_space:  global
        .offset:         72
        .size:           8
        .value_kind:     global_buffer
      - .offset:         80
        .size:           8
        .value_kind:     by_value
      - .address_space:  global
        .offset:         88
        .size:           8
        .value_kind:     global_buffer
      - .offset:         96
        .size:           8
        .value_kind:     by_value
      - .offset:         104
        .size:           4
        .value_kind:     by_value
      - .offset:         112
        .size:           4
        .value_kind:     hidden_block_count_x
      - .offset:         116
        .size:           4
        .value_kind:     hidden_block_count_y
      - .offset:         120
        .size:           4
        .value_kind:     hidden_block_count_z
      - .offset:         124
        .size:           2
        .value_kind:     hidden_group_size_x
      - .offset:         126
        .size:           2
        .value_kind:     hidden_group_size_y
      - .offset:         128
        .size:           2
        .value_kind:     hidden_group_size_z
      - .offset:         130
        .size:           2
        .value_kind:     hidden_remainder_x
      - .offset:         132
        .size:           2
        .value_kind:     hidden_remainder_y
      - .offset:         134
        .size:           2
        .value_kind:     hidden_remainder_z
      - .offset:         152
        .size:           8
        .value_kind:     hidden_global_offset_x
      - .offset:         160
        .size:           8
        .value_kind:     hidden_global_offset_y
      - .offset:         168
        .size:           8
        .value_kind:     hidden_global_offset_z
      - .offset:         176
        .size:           2
        .value_kind:     hidden_grid_dims
    .group_segment_fixed_size: 0
    .kernarg_segment_align: 8
    .kernarg_segment_size: 368
    .language:       OpenCL C
    .language_version:
      - 2
      - 0
    .max_flat_workgroup_size: 512
    .name:           _ZL18rocblas_rot_kernelIiLi512E19rocblas_complex_numIfEPS1_S2_PKfPKS1_EviT2_lllT3_lllT4_lT5_li
    .private_segment_fixed_size: 0
    .sgpr_count:     34
    .sgpr_spill_count: 0
    .symbol:         _ZL18rocblas_rot_kernelIiLi512E19rocblas_complex_numIfEPS1_S2_PKfPKS1_EviT2_lllT3_lllT4_lT5_li.kd
    .uniform_work_group_size: 1
    .uses_dynamic_stack: false
    .vgpr_count:     24
    .vgpr_spill_count: 0
    .wavefront_size: 32
  - .args:
      - .offset:         0
        .size:           4
        .value_kind:     by_value
      - .address_space:  global
        .offset:         8
        .size:           8
        .value_kind:     global_buffer
      - .offset:         16
        .size:           8
        .value_kind:     by_value
      - .offset:         24
        .size:           8
        .value_kind:     by_value
      - .offset:         32
        .size:           8
        .value_kind:     by_value
      - .address_space:  global
        .offset:         40
        .size:           8
        .value_kind:     global_buffer
      - .offset:         48
        .size:           8
        .value_kind:     by_value
      - .offset:         56
        .size:           8
        .value_kind:     by_value
      - .offset:         64
        .size:           8
        .value_kind:     by_value
      - .offset:         72
        .size:           4
        .value_kind:     by_value
      - .offset:         80
        .size:           8
        .value_kind:     by_value
      - .offset:         88
        .size:           8
        .value_kind:     by_value
      - .offset:         96
        .size:           8
        .value_kind:     by_value
      - .offset:         104
        .size:           4
        .value_kind:     by_value
      - .offset:         112
        .size:           4
        .value_kind:     hidden_block_count_x
      - .offset:         116
        .size:           4
        .value_kind:     hidden_block_count_y
      - .offset:         120
        .size:           4
        .value_kind:     hidden_block_count_z
      - .offset:         124
        .size:           2
        .value_kind:     hidden_group_size_x
      - .offset:         126
        .size:           2
        .value_kind:     hidden_group_size_y
      - .offset:         128
        .size:           2
        .value_kind:     hidden_group_size_z
      - .offset:         130
        .size:           2
        .value_kind:     hidden_remainder_x
      - .offset:         132
        .size:           2
        .value_kind:     hidden_remainder_y
      - .offset:         134
        .size:           2
        .value_kind:     hidden_remainder_z
      - .offset:         152
        .size:           8
        .value_kind:     hidden_global_offset_x
      - .offset:         160
        .size:           8
        .value_kind:     hidden_global_offset_y
      - .offset:         168
        .size:           8
        .value_kind:     hidden_global_offset_z
      - .offset:         176
        .size:           2
        .value_kind:     hidden_grid_dims
    .group_segment_fixed_size: 0
    .kernarg_segment_align: 8
    .kernarg_segment_size: 368
    .language:       OpenCL C
    .language_version:
      - 2
      - 0
    .max_flat_workgroup_size: 512
    .name:           _ZL18rocblas_rot_kernelIiLi512E19rocblas_complex_numIfEPS1_S2_fS1_EviT2_lllT3_lllT4_lT5_li
    .private_segment_fixed_size: 0
    .sgpr_count:     30
    .sgpr_spill_count: 0
    .symbol:         _ZL18rocblas_rot_kernelIiLi512E19rocblas_complex_numIfEPS1_S2_fS1_EviT2_lllT3_lllT4_lT5_li.kd
    .uniform_work_group_size: 1
    .uses_dynamic_stack: false
    .vgpr_count:     26
    .vgpr_spill_count: 0
    .wavefront_size: 32
  - .args:
      - .offset:         0
        .size:           4
        .value_kind:     by_value
      - .address_space:  global
        .offset:         8
        .size:           8
        .value_kind:     global_buffer
      - .offset:         16
        .size:           8
        .value_kind:     by_value
      - .offset:         24
        .size:           8
        .value_kind:     by_value
      - .offset:         32
        .size:           8
        .value_kind:     by_value
      - .address_space:  global
        .offset:         40
        .size:           8
        .value_kind:     global_buffer
      - .offset:         48
        .size:           8
        .value_kind:     by_value
      - .offset:         56
        .size:           8
        .value_kind:     by_value
      - .offset:         64
        .size:           8
        .value_kind:     by_value
      - .address_space:  global
        .offset:         72
        .size:           8
        .value_kind:     global_buffer
      - .offset:         80
        .size:           8
        .value_kind:     by_value
      - .address_space:  global
        .offset:         88
        .size:           8
        .value_kind:     global_buffer
      - .offset:         96
        .size:           8
        .value_kind:     by_value
      - .offset:         104
        .size:           4
        .value_kind:     by_value
      - .offset:         112
        .size:           4
        .value_kind:     hidden_block_count_x
      - .offset:         116
        .size:           4
        .value_kind:     hidden_block_count_y
      - .offset:         120
        .size:           4
        .value_kind:     hidden_block_count_z
      - .offset:         124
        .size:           2
        .value_kind:     hidden_group_size_x
      - .offset:         126
        .size:           2
        .value_kind:     hidden_group_size_y
      - .offset:         128
        .size:           2
        .value_kind:     hidden_group_size_z
      - .offset:         130
        .size:           2
        .value_kind:     hidden_remainder_x
      - .offset:         132
        .size:           2
        .value_kind:     hidden_remainder_y
      - .offset:         134
        .size:           2
        .value_kind:     hidden_remainder_z
      - .offset:         152
        .size:           8
        .value_kind:     hidden_global_offset_x
      - .offset:         160
        .size:           8
        .value_kind:     hidden_global_offset_y
      - .offset:         168
        .size:           8
        .value_kind:     hidden_global_offset_z
      - .offset:         176
        .size:           2
        .value_kind:     hidden_grid_dims
    .group_segment_fixed_size: 0
    .kernarg_segment_align: 8
    .kernarg_segment_size: 368
    .language:       OpenCL C
    .language_version:
      - 2
      - 0
    .max_flat_workgroup_size: 512
    .name:           _ZL18rocblas_rot_kernelIiLi512E19rocblas_complex_numIfEPS1_S2_PKS1_S4_EviT2_lllT3_lllT4_lT5_li
    .private_segment_fixed_size: 0
    .sgpr_count:     34
    .sgpr_spill_count: 0
    .symbol:         _ZL18rocblas_rot_kernelIiLi512E19rocblas_complex_numIfEPS1_S2_PKS1_S4_EviT2_lllT3_lllT4_lT5_li.kd
    .uniform_work_group_size: 1
    .uses_dynamic_stack: false
    .vgpr_count:     24
    .vgpr_spill_count: 0
    .wavefront_size: 32
  - .args:
      - .offset:         0
        .size:           4
        .value_kind:     by_value
      - .address_space:  global
        .offset:         8
        .size:           8
        .value_kind:     global_buffer
      - .offset:         16
        .size:           8
        .value_kind:     by_value
      - .offset:         24
        .size:           8
        .value_kind:     by_value
      - .offset:         32
        .size:           8
        .value_kind:     by_value
      - .address_space:  global
        .offset:         40
        .size:           8
        .value_kind:     global_buffer
      - .offset:         48
        .size:           8
        .value_kind:     by_value
      - .offset:         56
        .size:           8
        .value_kind:     by_value
      - .offset:         64
        .size:           8
        .value_kind:     by_value
      - .offset:         72
        .size:           8
        .value_kind:     by_value
      - .offset:         80
        .size:           8
        .value_kind:     by_value
      - .offset:         88
        .size:           8
        .value_kind:     by_value
      - .offset:         96
        .size:           8
        .value_kind:     by_value
      - .offset:         104
        .size:           4
        .value_kind:     by_value
      - .offset:         112
        .size:           4
        .value_kind:     hidden_block_count_x
      - .offset:         116
        .size:           4
        .value_kind:     hidden_block_count_y
      - .offset:         120
        .size:           4
        .value_kind:     hidden_block_count_z
      - .offset:         124
        .size:           2
        .value_kind:     hidden_group_size_x
      - .offset:         126
        .size:           2
        .value_kind:     hidden_group_size_y
      - .offset:         128
        .size:           2
        .value_kind:     hidden_group_size_z
      - .offset:         130
        .size:           2
        .value_kind:     hidden_remainder_x
      - .offset:         132
        .size:           2
        .value_kind:     hidden_remainder_y
      - .offset:         134
        .size:           2
        .value_kind:     hidden_remainder_z
      - .offset:         152
        .size:           8
        .value_kind:     hidden_global_offset_x
      - .offset:         160
        .size:           8
        .value_kind:     hidden_global_offset_y
      - .offset:         168
        .size:           8
        .value_kind:     hidden_global_offset_z
      - .offset:         176
        .size:           2
        .value_kind:     hidden_grid_dims
    .group_segment_fixed_size: 0
    .kernarg_segment_align: 8
    .kernarg_segment_size: 368
    .language:       OpenCL C
    .language_version:
      - 2
      - 0
    .max_flat_workgroup_size: 512
    .name:           _ZL18rocblas_rot_kernelIiLi512E19rocblas_complex_numIfEPS1_S2_S1_S1_EviT2_lllT3_lllT4_lT5_li
    .private_segment_fixed_size: 0
    .sgpr_count:     30
    .sgpr_spill_count: 0
    .symbol:         _ZL18rocblas_rot_kernelIiLi512E19rocblas_complex_numIfEPS1_S2_S1_S1_EviT2_lllT3_lllT4_lT5_li.kd
    .uniform_work_group_size: 1
    .uses_dynamic_stack: false
    .vgpr_count:     26
    .vgpr_spill_count: 0
    .wavefront_size: 32
  - .args:
      - .offset:         0
        .size:           4
        .value_kind:     by_value
      - .address_space:  global
        .offset:         8
        .size:           8
        .value_kind:     global_buffer
      - .offset:         16
        .size:           8
        .value_kind:     by_value
      - .offset:         24
        .size:           8
        .value_kind:     by_value
      - .offset:         32
        .size:           8
        .value_kind:     by_value
      - .address_space:  global
        .offset:         40
        .size:           8
        .value_kind:     global_buffer
      - .offset:         48
        .size:           8
        .value_kind:     by_value
      - .offset:         56
        .size:           8
        .value_kind:     by_value
      - .offset:         64
        .size:           8
        .value_kind:     by_value
      - .address_space:  global
        .offset:         72
        .size:           8
        .value_kind:     global_buffer
      - .offset:         80
        .size:           8
        .value_kind:     by_value
      - .address_space:  global
        .offset:         88
        .size:           8
        .value_kind:     global_buffer
      - .offset:         96
        .size:           8
        .value_kind:     by_value
      - .offset:         104
        .size:           4
        .value_kind:     by_value
      - .offset:         112
        .size:           4
        .value_kind:     hidden_block_count_x
      - .offset:         116
        .size:           4
        .value_kind:     hidden_block_count_y
      - .offset:         120
        .size:           4
        .value_kind:     hidden_block_count_z
      - .offset:         124
        .size:           2
        .value_kind:     hidden_group_size_x
      - .offset:         126
        .size:           2
        .value_kind:     hidden_group_size_y
      - .offset:         128
        .size:           2
        .value_kind:     hidden_group_size_z
      - .offset:         130
        .size:           2
        .value_kind:     hidden_remainder_x
      - .offset:         132
        .size:           2
        .value_kind:     hidden_remainder_y
      - .offset:         134
        .size:           2
        .value_kind:     hidden_remainder_z
      - .offset:         152
        .size:           8
        .value_kind:     hidden_global_offset_x
      - .offset:         160
        .size:           8
        .value_kind:     hidden_global_offset_y
      - .offset:         168
        .size:           8
        .value_kind:     hidden_global_offset_z
      - .offset:         176
        .size:           2
        .value_kind:     hidden_grid_dims
    .group_segment_fixed_size: 0
    .kernarg_segment_align: 8
    .kernarg_segment_size: 368
    .language:       OpenCL C
    .language_version:
      - 2
      - 0
    .max_flat_workgroup_size: 512
    .name:           _ZL18rocblas_rot_kernelIiLi512E19rocblas_complex_numIdEPS1_S2_PKdS4_EviT2_lllT3_lllT4_lT5_li
    .private_segment_fixed_size: 0
    .sgpr_count:     34
    .sgpr_spill_count: 0
    .symbol:         _ZL18rocblas_rot_kernelIiLi512E19rocblas_complex_numIdEPS1_S2_PKdS4_EviT2_lllT3_lllT4_lT5_li.kd
    .uniform_work_group_size: 1
    .uses_dynamic_stack: false
    .vgpr_count:     28
    .vgpr_spill_count: 0
    .wavefront_size: 32
  - .args:
      - .offset:         0
        .size:           4
        .value_kind:     by_value
      - .address_space:  global
        .offset:         8
        .size:           8
        .value_kind:     global_buffer
      - .offset:         16
        .size:           8
        .value_kind:     by_value
      - .offset:         24
        .size:           8
        .value_kind:     by_value
      - .offset:         32
        .size:           8
        .value_kind:     by_value
      - .address_space:  global
        .offset:         40
        .size:           8
        .value_kind:     global_buffer
      - .offset:         48
        .size:           8
        .value_kind:     by_value
      - .offset:         56
        .size:           8
        .value_kind:     by_value
      - .offset:         64
        .size:           8
        .value_kind:     by_value
      - .offset:         72
        .size:           8
        .value_kind:     by_value
      - .offset:         80
        .size:           8
        .value_kind:     by_value
      - .offset:         88
        .size:           8
        .value_kind:     by_value
      - .offset:         96
        .size:           8
        .value_kind:     by_value
      - .offset:         104
        .size:           4
        .value_kind:     by_value
      - .offset:         112
        .size:           4
        .value_kind:     hidden_block_count_x
      - .offset:         116
        .size:           4
        .value_kind:     hidden_block_count_y
      - .offset:         120
        .size:           4
        .value_kind:     hidden_block_count_z
      - .offset:         124
        .size:           2
        .value_kind:     hidden_group_size_x
      - .offset:         126
        .size:           2
        .value_kind:     hidden_group_size_y
      - .offset:         128
        .size:           2
        .value_kind:     hidden_group_size_z
      - .offset:         130
        .size:           2
        .value_kind:     hidden_remainder_x
      - .offset:         132
        .size:           2
        .value_kind:     hidden_remainder_y
      - .offset:         134
        .size:           2
        .value_kind:     hidden_remainder_z
      - .offset:         152
        .size:           8
        .value_kind:     hidden_global_offset_x
      - .offset:         160
        .size:           8
        .value_kind:     hidden_global_offset_y
      - .offset:         168
        .size:           8
        .value_kind:     hidden_global_offset_z
      - .offset:         176
        .size:           2
        .value_kind:     hidden_grid_dims
    .group_segment_fixed_size: 0
    .kernarg_segment_align: 8
    .kernarg_segment_size: 368
    .language:       OpenCL C
    .language_version:
      - 2
      - 0
    .max_flat_workgroup_size: 512
    .name:           _ZL18rocblas_rot_kernelIiLi512E19rocblas_complex_numIdEPS1_S2_ddEviT2_lllT3_lllT4_lT5_li
    .private_segment_fixed_size: 0
    .sgpr_count:     30
    .sgpr_spill_count: 0
    .symbol:         _ZL18rocblas_rot_kernelIiLi512E19rocblas_complex_numIdEPS1_S2_ddEviT2_lllT3_lllT4_lT5_li.kd
    .uniform_work_group_size: 1
    .uses_dynamic_stack: false
    .vgpr_count:     24
    .vgpr_spill_count: 0
    .wavefront_size: 32
  - .args:
      - .offset:         0
        .size:           4
        .value_kind:     by_value
      - .address_space:  global
        .offset:         8
        .size:           8
        .value_kind:     global_buffer
      - .offset:         16
        .size:           8
        .value_kind:     by_value
      - .offset:         24
        .size:           8
        .value_kind:     by_value
      - .offset:         32
        .size:           8
        .value_kind:     by_value
      - .address_space:  global
        .offset:         40
        .size:           8
        .value_kind:     global_buffer
      - .offset:         48
        .size:           8
        .value_kind:     by_value
      - .offset:         56
        .size:           8
        .value_kind:     by_value
      - .offset:         64
        .size:           8
        .value_kind:     by_value
      - .address_space:  global
        .offset:         72
        .size:           8
        .value_kind:     global_buffer
      - .offset:         80
        .size:           8
        .value_kind:     by_value
      - .address_space:  global
        .offset:         88
        .size:           8
        .value_kind:     global_buffer
      - .offset:         96
        .size:           8
        .value_kind:     by_value
      - .offset:         104
        .size:           4
        .value_kind:     by_value
      - .offset:         112
        .size:           4
        .value_kind:     hidden_block_count_x
      - .offset:         116
        .size:           4
        .value_kind:     hidden_block_count_y
      - .offset:         120
        .size:           4
        .value_kind:     hidden_block_count_z
      - .offset:         124
        .size:           2
        .value_kind:     hidden_group_size_x
      - .offset:         126
        .size:           2
        .value_kind:     hidden_group_size_y
      - .offset:         128
        .size:           2
        .value_kind:     hidden_group_size_z
      - .offset:         130
        .size:           2
        .value_kind:     hidden_remainder_x
      - .offset:         132
        .size:           2
        .value_kind:     hidden_remainder_y
      - .offset:         134
        .size:           2
        .value_kind:     hidden_remainder_z
      - .offset:         152
        .size:           8
        .value_kind:     hidden_global_offset_x
      - .offset:         160
        .size:           8
        .value_kind:     hidden_global_offset_y
      - .offset:         168
        .size:           8
        .value_kind:     hidden_global_offset_z
      - .offset:         176
        .size:           2
        .value_kind:     hidden_grid_dims
    .group_segment_fixed_size: 0
    .kernarg_segment_align: 8
    .kernarg_segment_size: 368
    .language:       OpenCL C
    .language_version:
      - 2
      - 0
    .max_flat_workgroup_size: 512
    .name:           _ZL18rocblas_rot_kernelIiLi512E19rocblas_complex_numIdEPS1_S2_PKdPKS1_EviT2_lllT3_lllT4_lT5_li
    .private_segment_fixed_size: 0
    .sgpr_count:     34
    .sgpr_spill_count: 0
    .symbol:         _ZL18rocblas_rot_kernelIiLi512E19rocblas_complex_numIdEPS1_S2_PKdPKS1_EviT2_lllT3_lllT4_lT5_li.kd
    .uniform_work_group_size: 1
    .uses_dynamic_stack: false
    .vgpr_count:     32
    .vgpr_spill_count: 0
    .wavefront_size: 32
  - .args:
      - .offset:         0
        .size:           4
        .value_kind:     by_value
      - .address_space:  global
        .offset:         8
        .size:           8
        .value_kind:     global_buffer
      - .offset:         16
        .size:           8
        .value_kind:     by_value
      - .offset:         24
        .size:           8
        .value_kind:     by_value
      - .offset:         32
        .size:           8
        .value_kind:     by_value
      - .address_space:  global
        .offset:         40
        .size:           8
        .value_kind:     global_buffer
      - .offset:         48
        .size:           8
        .value_kind:     by_value
      - .offset:         56
        .size:           8
        .value_kind:     by_value
      - .offset:         64
        .size:           8
        .value_kind:     by_value
      - .offset:         72
        .size:           8
        .value_kind:     by_value
      - .offset:         80
        .size:           8
        .value_kind:     by_value
      - .offset:         88
        .size:           16
        .value_kind:     by_value
      - .offset:         104
        .size:           8
        .value_kind:     by_value
      - .offset:         112
        .size:           4
        .value_kind:     by_value
      - .offset:         120
        .size:           4
        .value_kind:     hidden_block_count_x
      - .offset:         124
        .size:           4
        .value_kind:     hidden_block_count_y
      - .offset:         128
        .size:           4
        .value_kind:     hidden_block_count_z
      - .offset:         132
        .size:           2
        .value_kind:     hidden_group_size_x
      - .offset:         134
        .size:           2
        .value_kind:     hidden_group_size_y
      - .offset:         136
        .size:           2
        .value_kind:     hidden_group_size_z
      - .offset:         138
        .size:           2
        .value_kind:     hidden_remainder_x
      - .offset:         140
        .size:           2
        .value_kind:     hidden_remainder_y
      - .offset:         142
        .size:           2
        .value_kind:     hidden_remainder_z
      - .offset:         160
        .size:           8
        .value_kind:     hidden_global_offset_x
      - .offset:         168
        .size:           8
        .value_kind:     hidden_global_offset_y
      - .offset:         176
        .size:           8
        .value_kind:     hidden_global_offset_z
      - .offset:         184
        .size:           2
        .value_kind:     hidden_grid_dims
    .group_segment_fixed_size: 0
    .kernarg_segment_align: 8
    .kernarg_segment_size: 376
    .language:       OpenCL C
    .language_version:
      - 2
      - 0
    .max_flat_workgroup_size: 512
    .name:           _ZL18rocblas_rot_kernelIiLi512E19rocblas_complex_numIdEPS1_S2_dS1_EviT2_lllT3_lllT4_lT5_li
    .private_segment_fixed_size: 0
    .sgpr_count:     32
    .sgpr_spill_count: 0
    .symbol:         _ZL18rocblas_rot_kernelIiLi512E19rocblas_complex_numIdEPS1_S2_dS1_EviT2_lllT3_lllT4_lT5_li.kd
    .uniform_work_group_size: 1
    .uses_dynamic_stack: false
    .vgpr_count:     24
    .vgpr_spill_count: 0
    .wavefront_size: 32
  - .args:
      - .offset:         0
        .size:           4
        .value_kind:     by_value
      - .address_space:  global
        .offset:         8
        .size:           8
        .value_kind:     global_buffer
      - .offset:         16
        .size:           8
        .value_kind:     by_value
      - .offset:         24
        .size:           8
        .value_kind:     by_value
      - .offset:         32
        .size:           8
        .value_kind:     by_value
      - .address_space:  global
        .offset:         40
        .size:           8
        .value_kind:     global_buffer
      - .offset:         48
        .size:           8
        .value_kind:     by_value
      - .offset:         56
        .size:           8
        .value_kind:     by_value
      - .offset:         64
        .size:           8
        .value_kind:     by_value
      - .address_space:  global
        .offset:         72
        .size:           8
        .value_kind:     global_buffer
      - .offset:         80
        .size:           8
        .value_kind:     by_value
      - .address_space:  global
        .offset:         88
        .size:           8
        .value_kind:     global_buffer
      - .offset:         96
        .size:           8
        .value_kind:     by_value
      - .offset:         104
        .size:           4
        .value_kind:     by_value
      - .offset:         112
        .size:           4
        .value_kind:     hidden_block_count_x
      - .offset:         116
        .size:           4
        .value_kind:     hidden_block_count_y
      - .offset:         120
        .size:           4
        .value_kind:     hidden_block_count_z
      - .offset:         124
        .size:           2
        .value_kind:     hidden_group_size_x
      - .offset:         126
        .size:           2
        .value_kind:     hidden_group_size_y
      - .offset:         128
        .size:           2
        .value_kind:     hidden_group_size_z
      - .offset:         130
        .size:           2
        .value_kind:     hidden_remainder_x
      - .offset:         132
        .size:           2
        .value_kind:     hidden_remainder_y
      - .offset:         134
        .size:           2
        .value_kind:     hidden_remainder_z
      - .offset:         152
        .size:           8
        .value_kind:     hidden_global_offset_x
      - .offset:         160
        .size:           8
        .value_kind:     hidden_global_offset_y
      - .offset:         168
        .size:           8
        .value_kind:     hidden_global_offset_z
      - .offset:         176
        .size:           2
        .value_kind:     hidden_grid_dims
    .group_segment_fixed_size: 0
    .kernarg_segment_align: 8
    .kernarg_segment_size: 368
    .language:       OpenCL C
    .language_version:
      - 2
      - 0
    .max_flat_workgroup_size: 512
    .name:           _ZL18rocblas_rot_kernelIiLi512E19rocblas_complex_numIdEPS1_S2_PKS1_S4_EviT2_lllT3_lllT4_lT5_li
    .private_segment_fixed_size: 0
    .sgpr_count:     34
    .sgpr_spill_count: 0
    .symbol:         _ZL18rocblas_rot_kernelIiLi512E19rocblas_complex_numIdEPS1_S2_PKS1_S4_EviT2_lllT3_lllT4_lT5_li.kd
    .uniform_work_group_size: 1
    .uses_dynamic_stack: false
    .vgpr_count:     32
    .vgpr_spill_count: 0
    .wavefront_size: 32
  - .args:
      - .offset:         0
        .size:           4
        .value_kind:     by_value
      - .address_space:  global
        .offset:         8
        .size:           8
        .value_kind:     global_buffer
      - .offset:         16
        .size:           8
        .value_kind:     by_value
      - .offset:         24
        .size:           8
        .value_kind:     by_value
      - .offset:         32
        .size:           8
        .value_kind:     by_value
      - .address_space:  global
        .offset:         40
        .size:           8
        .value_kind:     global_buffer
      - .offset:         48
        .size:           8
        .value_kind:     by_value
      - .offset:         56
        .size:           8
        .value_kind:     by_value
      - .offset:         64
        .size:           8
        .value_kind:     by_value
      - .offset:         72
        .size:           16
        .value_kind:     by_value
      - .offset:         88
        .size:           8
        .value_kind:     by_value
      - .offset:         96
        .size:           16
        .value_kind:     by_value
      - .offset:         112
        .size:           8
        .value_kind:     by_value
      - .offset:         120
        .size:           4
        .value_kind:     by_value
      - .offset:         128
        .size:           4
        .value_kind:     hidden_block_count_x
      - .offset:         132
        .size:           4
        .value_kind:     hidden_block_count_y
      - .offset:         136
        .size:           4
        .value_kind:     hidden_block_count_z
      - .offset:         140
        .size:           2
        .value_kind:     hidden_group_size_x
      - .offset:         142
        .size:           2
        .value_kind:     hidden_group_size_y
      - .offset:         144
        .size:           2
        .value_kind:     hidden_group_size_z
      - .offset:         146
        .size:           2
        .value_kind:     hidden_remainder_x
      - .offset:         148
        .size:           2
        .value_kind:     hidden_remainder_y
      - .offset:         150
        .size:           2
        .value_kind:     hidden_remainder_z
      - .offset:         168
        .size:           8
        .value_kind:     hidden_global_offset_x
      - .offset:         176
        .size:           8
        .value_kind:     hidden_global_offset_y
      - .offset:         184
        .size:           8
        .value_kind:     hidden_global_offset_z
      - .offset:         192
        .size:           2
        .value_kind:     hidden_grid_dims
    .group_segment_fixed_size: 0
    .kernarg_segment_align: 8
    .kernarg_segment_size: 384
    .language:       OpenCL C
    .language_version:
      - 2
      - 0
    .max_flat_workgroup_size: 512
    .name:           _ZL18rocblas_rot_kernelIiLi512E19rocblas_complex_numIdEPS1_S2_S1_S1_EviT2_lllT3_lllT4_lT5_li
    .private_segment_fixed_size: 0
    .sgpr_count:     32
    .sgpr_spill_count: 0
    .symbol:         _ZL18rocblas_rot_kernelIiLi512E19rocblas_complex_numIdEPS1_S2_S1_S1_EviT2_lllT3_lllT4_lT5_li.kd
    .uniform_work_group_size: 1
    .uses_dynamic_stack: false
    .vgpr_count:     24
    .vgpr_spill_count: 0
    .wavefront_size: 32
  - .args:
      - .offset:         0
        .size:           4
        .value_kind:     by_value
      - .address_space:  global
        .offset:         8
        .size:           8
        .value_kind:     global_buffer
      - .offset:         16
        .size:           8
        .value_kind:     by_value
      - .offset:         24
        .size:           8
        .value_kind:     by_value
      - .offset:         32
        .size:           8
        .value_kind:     by_value
      - .address_space:  global
        .offset:         40
        .size:           8
        .value_kind:     global_buffer
      - .offset:         48
        .size:           8
        .value_kind:     by_value
      - .offset:         56
        .size:           8
        .value_kind:     by_value
      - .offset:         64
        .size:           8
        .value_kind:     by_value
      - .address_space:  global
        .offset:         72
        .size:           8
        .value_kind:     global_buffer
      - .offset:         80
        .size:           8
        .value_kind:     by_value
      - .address_space:  global
        .offset:         88
        .size:           8
        .value_kind:     global_buffer
      - .offset:         96
        .size:           8
        .value_kind:     by_value
      - .offset:         104
        .size:           4
        .value_kind:     by_value
      - .offset:         112
        .size:           4
        .value_kind:     hidden_block_count_x
      - .offset:         116
        .size:           4
        .value_kind:     hidden_block_count_y
      - .offset:         120
        .size:           4
        .value_kind:     hidden_block_count_z
      - .offset:         124
        .size:           2
        .value_kind:     hidden_group_size_x
      - .offset:         126
        .size:           2
        .value_kind:     hidden_group_size_y
      - .offset:         128
        .size:           2
        .value_kind:     hidden_group_size_z
      - .offset:         130
        .size:           2
        .value_kind:     hidden_remainder_x
      - .offset:         132
        .size:           2
        .value_kind:     hidden_remainder_y
      - .offset:         134
        .size:           2
        .value_kind:     hidden_remainder_z
      - .offset:         152
        .size:           8
        .value_kind:     hidden_global_offset_x
      - .offset:         160
        .size:           8
        .value_kind:     hidden_global_offset_y
      - .offset:         168
        .size:           8
        .value_kind:     hidden_global_offset_z
      - .offset:         176
        .size:           2
        .value_kind:     hidden_grid_dims
    .group_segment_fixed_size: 0
    .kernarg_segment_align: 8
    .kernarg_segment_size: 368
    .language:       OpenCL C
    .language_version:
      - 2
      - 0
    .max_flat_workgroup_size: 512
    .name:           _ZL18rocblas_rot_kernelIiLi512EfPKPfS2_PKfS4_EviT2_lllT3_lllT4_lT5_li
    .private_segment_fixed_size: 0
    .sgpr_count:     28
    .sgpr_spill_count: 0
    .symbol:         _ZL18rocblas_rot_kernelIiLi512EfPKPfS2_PKfS4_EviT2_lllT3_lllT4_lT5_li.kd
    .uniform_work_group_size: 1
    .uses_dynamic_stack: false
    .vgpr_count:     16
    .vgpr_spill_count: 0
    .wavefront_size: 32
  - .args:
      - .offset:         0
        .size:           4
        .value_kind:     by_value
      - .address_space:  global
        .offset:         8
        .size:           8
        .value_kind:     global_buffer
      - .offset:         16
        .size:           8
        .value_kind:     by_value
      - .offset:         24
        .size:           8
        .value_kind:     by_value
      - .offset:         32
        .size:           8
        .value_kind:     by_value
      - .address_space:  global
        .offset:         40
        .size:           8
        .value_kind:     global_buffer
      - .offset:         48
        .size:           8
        .value_kind:     by_value
      - .offset:         56
        .size:           8
        .value_kind:     by_value
      - .offset:         64
        .size:           8
        .value_kind:     by_value
      - .offset:         72
        .size:           4
        .value_kind:     by_value
      - .offset:         80
        .size:           8
        .value_kind:     by_value
      - .offset:         88
        .size:           4
        .value_kind:     by_value
      - .offset:         96
        .size:           8
        .value_kind:     by_value
      - .offset:         104
        .size:           4
        .value_kind:     by_value
      - .offset:         112
        .size:           4
        .value_kind:     hidden_block_count_x
      - .offset:         116
        .size:           4
        .value_kind:     hidden_block_count_y
      - .offset:         120
        .size:           4
        .value_kind:     hidden_block_count_z
      - .offset:         124
        .size:           2
        .value_kind:     hidden_group_size_x
      - .offset:         126
        .size:           2
        .value_kind:     hidden_group_size_y
      - .offset:         128
        .size:           2
        .value_kind:     hidden_group_size_z
      - .offset:         130
        .size:           2
        .value_kind:     hidden_remainder_x
      - .offset:         132
        .size:           2
        .value_kind:     hidden_remainder_y
      - .offset:         134
        .size:           2
        .value_kind:     hidden_remainder_z
      - .offset:         152
        .size:           8
        .value_kind:     hidden_global_offset_x
      - .offset:         160
        .size:           8
        .value_kind:     hidden_global_offset_y
      - .offset:         168
        .size:           8
        .value_kind:     hidden_global_offset_z
      - .offset:         176
        .size:           2
        .value_kind:     hidden_grid_dims
    .group_segment_fixed_size: 0
    .kernarg_segment_align: 8
    .kernarg_segment_size: 368
    .language:       OpenCL C
    .language_version:
      - 2
      - 0
    .max_flat_workgroup_size: 512
    .name:           _ZL18rocblas_rot_kernelIiLi512EfPKPfS2_ffEviT2_lllT3_lllT4_lT5_li
    .private_segment_fixed_size: 0
    .sgpr_count:     22
    .sgpr_spill_count: 0
    .symbol:         _ZL18rocblas_rot_kernelIiLi512EfPKPfS2_ffEviT2_lllT3_lllT4_lT5_li.kd
    .uniform_work_group_size: 1
    .uses_dynamic_stack: false
    .vgpr_count:     14
    .vgpr_spill_count: 0
    .wavefront_size: 32
  - .args:
      - .offset:         0
        .size:           4
        .value_kind:     by_value
      - .address_space:  global
        .offset:         8
        .size:           8
        .value_kind:     global_buffer
      - .offset:         16
        .size:           8
        .value_kind:     by_value
      - .offset:         24
        .size:           8
        .value_kind:     by_value
      - .offset:         32
        .size:           8
        .value_kind:     by_value
      - .address_space:  global
        .offset:         40
        .size:           8
        .value_kind:     global_buffer
      - .offset:         48
        .size:           8
        .value_kind:     by_value
      - .offset:         56
        .size:           8
        .value_kind:     by_value
      - .offset:         64
        .size:           8
        .value_kind:     by_value
      - .address_space:  global
        .offset:         72
        .size:           8
        .value_kind:     global_buffer
      - .offset:         80
        .size:           8
        .value_kind:     by_value
      - .address_space:  global
        .offset:         88
        .size:           8
        .value_kind:     global_buffer
      - .offset:         96
        .size:           8
        .value_kind:     by_value
      - .offset:         104
        .size:           4
        .value_kind:     by_value
      - .offset:         112
        .size:           4
        .value_kind:     hidden_block_count_x
      - .offset:         116
        .size:           4
        .value_kind:     hidden_block_count_y
      - .offset:         120
        .size:           4
        .value_kind:     hidden_block_count_z
      - .offset:         124
        .size:           2
        .value_kind:     hidden_group_size_x
      - .offset:         126
        .size:           2
        .value_kind:     hidden_group_size_y
      - .offset:         128
        .size:           2
        .value_kind:     hidden_group_size_z
      - .offset:         130
        .size:           2
        .value_kind:     hidden_remainder_x
      - .offset:         132
        .size:           2
        .value_kind:     hidden_remainder_y
      - .offset:         134
        .size:           2
        .value_kind:     hidden_remainder_z
      - .offset:         152
        .size:           8
        .value_kind:     hidden_global_offset_x
      - .offset:         160
        .size:           8
        .value_kind:     hidden_global_offset_y
      - .offset:         168
        .size:           8
        .value_kind:     hidden_global_offset_z
      - .offset:         176
        .size:           2
        .value_kind:     hidden_grid_dims
    .group_segment_fixed_size: 0
    .kernarg_segment_align: 8
    .kernarg_segment_size: 368
    .language:       OpenCL C
    .language_version:
      - 2
      - 0
    .max_flat_workgroup_size: 512
    .name:           _ZL18rocblas_rot_kernelIiLi512EdPKPdS2_PKdS4_EviT2_lllT3_lllT4_lT5_li
    .private_segment_fixed_size: 0
    .sgpr_count:     30
    .sgpr_spill_count: 0
    .symbol:         _ZL18rocblas_rot_kernelIiLi512EdPKPdS2_PKdS4_EviT2_lllT3_lllT4_lT5_li.kd
    .uniform_work_group_size: 1
    .uses_dynamic_stack: false
    .vgpr_count:     20
    .vgpr_spill_count: 0
    .wavefront_size: 32
  - .args:
      - .offset:         0
        .size:           4
        .value_kind:     by_value
      - .address_space:  global
        .offset:         8
        .size:           8
        .value_kind:     global_buffer
      - .offset:         16
        .size:           8
        .value_kind:     by_value
      - .offset:         24
        .size:           8
        .value_kind:     by_value
      - .offset:         32
        .size:           8
        .value_kind:     by_value
      - .address_space:  global
        .offset:         40
        .size:           8
        .value_kind:     global_buffer
      - .offset:         48
        .size:           8
        .value_kind:     by_value
      - .offset:         56
        .size:           8
        .value_kind:     by_value
      - .offset:         64
        .size:           8
        .value_kind:     by_value
      - .offset:         72
        .size:           8
        .value_kind:     by_value
      - .offset:         80
        .size:           8
        .value_kind:     by_value
      - .offset:         88
        .size:           8
        .value_kind:     by_value
      - .offset:         96
        .size:           8
        .value_kind:     by_value
      - .offset:         104
        .size:           4
        .value_kind:     by_value
      - .offset:         112
        .size:           4
        .value_kind:     hidden_block_count_x
      - .offset:         116
        .size:           4
        .value_kind:     hidden_block_count_y
      - .offset:         120
        .size:           4
        .value_kind:     hidden_block_count_z
      - .offset:         124
        .size:           2
        .value_kind:     hidden_group_size_x
      - .offset:         126
        .size:           2
        .value_kind:     hidden_group_size_y
      - .offset:         128
        .size:           2
        .value_kind:     hidden_group_size_z
      - .offset:         130
        .size:           2
        .value_kind:     hidden_remainder_x
      - .offset:         132
        .size:           2
        .value_kind:     hidden_remainder_y
      - .offset:         134
        .size:           2
        .value_kind:     hidden_remainder_z
      - .offset:         152
        .size:           8
        .value_kind:     hidden_global_offset_x
      - .offset:         160
        .size:           8
        .value_kind:     hidden_global_offset_y
      - .offset:         168
        .size:           8
        .value_kind:     hidden_global_offset_z
      - .offset:         176
        .size:           2
        .value_kind:     hidden_grid_dims
    .group_segment_fixed_size: 0
    .kernarg_segment_align: 8
    .kernarg_segment_size: 368
    .language:       OpenCL C
    .language_version:
      - 2
      - 0
    .max_flat_workgroup_size: 512
    .name:           _ZL18rocblas_rot_kernelIiLi512EdPKPdS2_ddEviT2_lllT3_lllT4_lT5_li
    .private_segment_fixed_size: 0
    .sgpr_count:     24
    .sgpr_spill_count: 0
    .symbol:         _ZL18rocblas_rot_kernelIiLi512EdPKPdS2_ddEviT2_lllT3_lllT4_lT5_li.kd
    .uniform_work_group_size: 1
    .uses_dynamic_stack: false
    .vgpr_count:     16
    .vgpr_spill_count: 0
    .wavefront_size: 32
  - .args:
      - .offset:         0
        .size:           4
        .value_kind:     by_value
      - .address_space:  global
        .offset:         8
        .size:           8
        .value_kind:     global_buffer
      - .offset:         16
        .size:           8
        .value_kind:     by_value
      - .offset:         24
        .size:           8
        .value_kind:     by_value
      - .offset:         32
        .size:           8
        .value_kind:     by_value
      - .address_space:  global
        .offset:         40
        .size:           8
        .value_kind:     global_buffer
      - .offset:         48
        .size:           8
        .value_kind:     by_value
      - .offset:         56
        .size:           8
        .value_kind:     by_value
      - .offset:         64
        .size:           8
        .value_kind:     by_value
      - .address_space:  global
        .offset:         72
        .size:           8
        .value_kind:     global_buffer
      - .offset:         80
        .size:           8
        .value_kind:     by_value
      - .address_space:  global
        .offset:         88
        .size:           8
        .value_kind:     global_buffer
      - .offset:         96
        .size:           8
        .value_kind:     by_value
      - .offset:         104
        .size:           4
        .value_kind:     by_value
      - .offset:         112
        .size:           4
        .value_kind:     hidden_block_count_x
      - .offset:         116
        .size:           4
        .value_kind:     hidden_block_count_y
      - .offset:         120
        .size:           4
        .value_kind:     hidden_block_count_z
      - .offset:         124
        .size:           2
        .value_kind:     hidden_group_size_x
      - .offset:         126
        .size:           2
        .value_kind:     hidden_group_size_y
      - .offset:         128
        .size:           2
        .value_kind:     hidden_group_size_z
      - .offset:         130
        .size:           2
        .value_kind:     hidden_remainder_x
      - .offset:         132
        .size:           2
        .value_kind:     hidden_remainder_y
      - .offset:         134
        .size:           2
        .value_kind:     hidden_remainder_z
      - .offset:         152
        .size:           8
        .value_kind:     hidden_global_offset_x
      - .offset:         160
        .size:           8
        .value_kind:     hidden_global_offset_y
      - .offset:         168
        .size:           8
        .value_kind:     hidden_global_offset_z
      - .offset:         176
        .size:           2
        .value_kind:     hidden_grid_dims
    .group_segment_fixed_size: 0
    .kernarg_segment_align: 8
    .kernarg_segment_size: 368
    .language:       OpenCL C
    .language_version:
      - 2
      - 0
    .max_flat_workgroup_size: 512
    .name:           _ZL18rocblas_rot_kernelIiLi512EfPKP16rocblas_bfloat16S3_PKS0_S5_EviT2_lllT3_lllT4_lT5_li
    .private_segment_fixed_size: 0
    .sgpr_count:     28
    .sgpr_spill_count: 0
    .symbol:         _ZL18rocblas_rot_kernelIiLi512EfPKP16rocblas_bfloat16S3_PKS0_S5_EviT2_lllT3_lllT4_lT5_li.kd
    .uniform_work_group_size: 1
    .uses_dynamic_stack: false
    .vgpr_count:     19
    .vgpr_spill_count: 0
    .wavefront_size: 32
  - .args:
      - .offset:         0
        .size:           4
        .value_kind:     by_value
      - .address_space:  global
        .offset:         8
        .size:           8
        .value_kind:     global_buffer
      - .offset:         16
        .size:           8
        .value_kind:     by_value
      - .offset:         24
        .size:           8
        .value_kind:     by_value
      - .offset:         32
        .size:           8
        .value_kind:     by_value
      - .address_space:  global
        .offset:         40
        .size:           8
        .value_kind:     global_buffer
      - .offset:         48
        .size:           8
        .value_kind:     by_value
      - .offset:         56
        .size:           8
        .value_kind:     by_value
      - .offset:         64
        .size:           8
        .value_kind:     by_value
      - .offset:         72
        .size:           2
        .value_kind:     by_value
      - .offset:         80
        .size:           8
        .value_kind:     by_value
      - .offset:         88
        .size:           2
        .value_kind:     by_value
      - .offset:         96
        .size:           8
        .value_kind:     by_value
      - .offset:         104
        .size:           4
        .value_kind:     by_value
      - .offset:         112
        .size:           4
        .value_kind:     hidden_block_count_x
      - .offset:         116
        .size:           4
        .value_kind:     hidden_block_count_y
      - .offset:         120
        .size:           4
        .value_kind:     hidden_block_count_z
      - .offset:         124
        .size:           2
        .value_kind:     hidden_group_size_x
      - .offset:         126
        .size:           2
        .value_kind:     hidden_group_size_y
      - .offset:         128
        .size:           2
        .value_kind:     hidden_group_size_z
      - .offset:         130
        .size:           2
        .value_kind:     hidden_remainder_x
      - .offset:         132
        .size:           2
        .value_kind:     hidden_remainder_y
      - .offset:         134
        .size:           2
        .value_kind:     hidden_remainder_z
      - .offset:         152
        .size:           8
        .value_kind:     hidden_global_offset_x
      - .offset:         160
        .size:           8
        .value_kind:     hidden_global_offset_y
      - .offset:         168
        .size:           8
        .value_kind:     hidden_global_offset_z
      - .offset:         176
        .size:           2
        .value_kind:     hidden_grid_dims
    .group_segment_fixed_size: 0
    .kernarg_segment_align: 8
    .kernarg_segment_size: 368
    .language:       OpenCL C
    .language_version:
      - 2
      - 0
    .max_flat_workgroup_size: 512
    .name:           _ZL18rocblas_rot_kernelIiLi512EfPKP16rocblas_bfloat16S3_S0_S0_EviT2_lllT3_lllT4_lT5_li
    .private_segment_fixed_size: 0
    .sgpr_count:     23
    .sgpr_spill_count: 0
    .symbol:         _ZL18rocblas_rot_kernelIiLi512EfPKP16rocblas_bfloat16S3_S0_S0_EviT2_lllT3_lllT4_lT5_li.kd
    .uniform_work_group_size: 1
    .uses_dynamic_stack: false
    .vgpr_count:     14
    .vgpr_spill_count: 0
    .wavefront_size: 32
  - .args:
      - .offset:         0
        .size:           4
        .value_kind:     by_value
      - .address_space:  global
        .offset:         8
        .size:           8
        .value_kind:     global_buffer
      - .offset:         16
        .size:           8
        .value_kind:     by_value
      - .offset:         24
        .size:           8
        .value_kind:     by_value
      - .offset:         32
        .size:           8
        .value_kind:     by_value
      - .address_space:  global
        .offset:         40
        .size:           8
        .value_kind:     global_buffer
      - .offset:         48
        .size:           8
        .value_kind:     by_value
      - .offset:         56
        .size:           8
        .value_kind:     by_value
      - .offset:         64
        .size:           8
        .value_kind:     by_value
      - .address_space:  global
        .offset:         72
        .size:           8
        .value_kind:     global_buffer
      - .offset:         80
        .size:           8
        .value_kind:     by_value
      - .address_space:  global
        .offset:         88
        .size:           8
        .value_kind:     global_buffer
      - .offset:         96
        .size:           8
        .value_kind:     by_value
      - .offset:         104
        .size:           4
        .value_kind:     by_value
      - .offset:         112
        .size:           4
        .value_kind:     hidden_block_count_x
      - .offset:         116
        .size:           4
        .value_kind:     hidden_block_count_y
      - .offset:         120
        .size:           4
        .value_kind:     hidden_block_count_z
      - .offset:         124
        .size:           2
        .value_kind:     hidden_group_size_x
      - .offset:         126
        .size:           2
        .value_kind:     hidden_group_size_y
      - .offset:         128
        .size:           2
        .value_kind:     hidden_group_size_z
      - .offset:         130
        .size:           2
        .value_kind:     hidden_remainder_x
      - .offset:         132
        .size:           2
        .value_kind:     hidden_remainder_y
      - .offset:         134
        .size:           2
        .value_kind:     hidden_remainder_z
      - .offset:         152
        .size:           8
        .value_kind:     hidden_global_offset_x
      - .offset:         160
        .size:           8
        .value_kind:     hidden_global_offset_y
      - .offset:         168
        .size:           8
        .value_kind:     hidden_global_offset_z
      - .offset:         176
        .size:           2
        .value_kind:     hidden_grid_dims
    .group_segment_fixed_size: 0
    .kernarg_segment_align: 8
    .kernarg_segment_size: 368
    .language:       OpenCL C
    .language_version:
      - 2
      - 0
    .max_flat_workgroup_size: 512
    .name:           _ZL18rocblas_rot_kernelIiLi512EfPKPDF16_S2_PKDF16_S4_EviT2_lllT3_lllT4_lT5_li
    .private_segment_fixed_size: 0
    .sgpr_count:     30
    .sgpr_spill_count: 0
    .symbol:         _ZL18rocblas_rot_kernelIiLi512EfPKPDF16_S2_PKDF16_S4_EviT2_lllT3_lllT4_lT5_li.kd
    .uniform_work_group_size: 1
    .uses_dynamic_stack: false
    .vgpr_count:     14
    .vgpr_spill_count: 0
    .wavefront_size: 32
  - .args:
      - .offset:         0
        .size:           4
        .value_kind:     by_value
      - .address_space:  global
        .offset:         8
        .size:           8
        .value_kind:     global_buffer
      - .offset:         16
        .size:           8
        .value_kind:     by_value
      - .offset:         24
        .size:           8
        .value_kind:     by_value
      - .offset:         32
        .size:           8
        .value_kind:     by_value
      - .address_space:  global
        .offset:         40
        .size:           8
        .value_kind:     global_buffer
      - .offset:         48
        .size:           8
        .value_kind:     by_value
      - .offset:         56
        .size:           8
        .value_kind:     by_value
      - .offset:         64
        .size:           8
        .value_kind:     by_value
      - .offset:         72
        .size:           2
        .value_kind:     by_value
      - .offset:         80
        .size:           8
        .value_kind:     by_value
      - .offset:         88
        .size:           2
        .value_kind:     by_value
      - .offset:         96
        .size:           8
        .value_kind:     by_value
      - .offset:         104
        .size:           4
        .value_kind:     by_value
      - .offset:         112
        .size:           4
        .value_kind:     hidden_block_count_x
      - .offset:         116
        .size:           4
        .value_kind:     hidden_block_count_y
      - .offset:         120
        .size:           4
        .value_kind:     hidden_block_count_z
      - .offset:         124
        .size:           2
        .value_kind:     hidden_group_size_x
      - .offset:         126
        .size:           2
        .value_kind:     hidden_group_size_y
      - .offset:         128
        .size:           2
        .value_kind:     hidden_group_size_z
      - .offset:         130
        .size:           2
        .value_kind:     hidden_remainder_x
      - .offset:         132
        .size:           2
        .value_kind:     hidden_remainder_y
      - .offset:         134
        .size:           2
        .value_kind:     hidden_remainder_z
      - .offset:         152
        .size:           8
        .value_kind:     hidden_global_offset_x
      - .offset:         160
        .size:           8
        .value_kind:     hidden_global_offset_y
      - .offset:         168
        .size:           8
        .value_kind:     hidden_global_offset_z
      - .offset:         176
        .size:           2
        .value_kind:     hidden_grid_dims
    .group_segment_fixed_size: 0
    .kernarg_segment_align: 8
    .kernarg_segment_size: 368
    .language:       OpenCL C
    .language_version:
      - 2
      - 0
    .max_flat_workgroup_size: 512
    .name:           _ZL18rocblas_rot_kernelIiLi512EfPKPDF16_S2_DF16_DF16_EviT2_lllT3_lllT4_lT5_li
    .private_segment_fixed_size: 0
    .sgpr_count:     24
    .sgpr_spill_count: 0
    .symbol:         _ZL18rocblas_rot_kernelIiLi512EfPKPDF16_S2_DF16_DF16_EviT2_lllT3_lllT4_lT5_li.kd
    .uniform_work_group_size: 1
    .uses_dynamic_stack: false
    .vgpr_count:     12
    .vgpr_spill_count: 0
    .wavefront_size: 32
  - .args:
      - .offset:         0
        .size:           4
        .value_kind:     by_value
      - .address_space:  global
        .offset:         8
        .size:           8
        .value_kind:     global_buffer
      - .offset:         16
        .size:           8
        .value_kind:     by_value
      - .offset:         24
        .size:           8
        .value_kind:     by_value
      - .offset:         32
        .size:           8
        .value_kind:     by_value
      - .address_space:  global
        .offset:         40
        .size:           8
        .value_kind:     global_buffer
      - .offset:         48
        .size:           8
        .value_kind:     by_value
      - .offset:         56
        .size:           8
        .value_kind:     by_value
      - .offset:         64
        .size:           8
        .value_kind:     by_value
      - .address_space:  global
        .offset:         72
        .size:           8
        .value_kind:     global_buffer
      - .offset:         80
        .size:           8
        .value_kind:     by_value
      - .address_space:  global
        .offset:         88
        .size:           8
        .value_kind:     global_buffer
      - .offset:         96
        .size:           8
        .value_kind:     by_value
      - .offset:         104
        .size:           4
        .value_kind:     by_value
      - .offset:         112
        .size:           4
        .value_kind:     hidden_block_count_x
      - .offset:         116
        .size:           4
        .value_kind:     hidden_block_count_y
      - .offset:         120
        .size:           4
        .value_kind:     hidden_block_count_z
      - .offset:         124
        .size:           2
        .value_kind:     hidden_group_size_x
      - .offset:         126
        .size:           2
        .value_kind:     hidden_group_size_y
      - .offset:         128
        .size:           2
        .value_kind:     hidden_group_size_z
      - .offset:         130
        .size:           2
        .value_kind:     hidden_remainder_x
      - .offset:         132
        .size:           2
        .value_kind:     hidden_remainder_y
      - .offset:         134
        .size:           2
        .value_kind:     hidden_remainder_z
      - .offset:         152
        .size:           8
        .value_kind:     hidden_global_offset_x
      - .offset:         160
        .size:           8
        .value_kind:     hidden_global_offset_y
      - .offset:         168
        .size:           8
        .value_kind:     hidden_global_offset_z
      - .offset:         176
        .size:           2
        .value_kind:     hidden_grid_dims
    .group_segment_fixed_size: 0
    .kernarg_segment_align: 8
    .kernarg_segment_size: 368
    .language:       OpenCL C
    .language_version:
      - 2
      - 0
    .max_flat_workgroup_size: 512
    .name:           _ZL18rocblas_rot_kernelIiLi512E19rocblas_complex_numIfEPKPS1_S4_PKfS6_EviT2_lllT3_lllT4_lT5_li
    .private_segment_fixed_size: 0
    .sgpr_count:     30
    .sgpr_spill_count: 0
    .symbol:         _ZL18rocblas_rot_kernelIiLi512E19rocblas_complex_numIfEPKPS1_S4_PKfS6_EviT2_lllT3_lllT4_lT5_li.kd
    .uniform_work_group_size: 1
    .uses_dynamic_stack: false
    .vgpr_count:     20
    .vgpr_spill_count: 0
    .wavefront_size: 32
  - .args:
      - .offset:         0
        .size:           4
        .value_kind:     by_value
      - .address_space:  global
        .offset:         8
        .size:           8
        .value_kind:     global_buffer
      - .offset:         16
        .size:           8
        .value_kind:     by_value
      - .offset:         24
        .size:           8
        .value_kind:     by_value
      - .offset:         32
        .size:           8
        .value_kind:     by_value
      - .address_space:  global
        .offset:         40
        .size:           8
        .value_kind:     global_buffer
      - .offset:         48
        .size:           8
        .value_kind:     by_value
      - .offset:         56
        .size:           8
        .value_kind:     by_value
      - .offset:         64
        .size:           8
        .value_kind:     by_value
      - .offset:         72
        .size:           4
        .value_kind:     by_value
      - .offset:         80
        .size:           8
        .value_kind:     by_value
      - .offset:         88
        .size:           4
        .value_kind:     by_value
      - .offset:         96
        .size:           8
        .value_kind:     by_value
      - .offset:         104
        .size:           4
        .value_kind:     by_value
      - .offset:         112
        .size:           4
        .value_kind:     hidden_block_count_x
      - .offset:         116
        .size:           4
        .value_kind:     hidden_block_count_y
      - .offset:         120
        .size:           4
        .value_kind:     hidden_block_count_z
      - .offset:         124
        .size:           2
        .value_kind:     hidden_group_size_x
      - .offset:         126
        .size:           2
        .value_kind:     hidden_group_size_y
      - .offset:         128
        .size:           2
        .value_kind:     hidden_group_size_z
      - .offset:         130
        .size:           2
        .value_kind:     hidden_remainder_x
      - .offset:         132
        .size:           2
        .value_kind:     hidden_remainder_y
      - .offset:         134
        .size:           2
        .value_kind:     hidden_remainder_z
      - .offset:         152
        .size:           8
        .value_kind:     hidden_global_offset_x
      - .offset:         160
        .size:           8
        .value_kind:     hidden_global_offset_y
      - .offset:         168
        .size:           8
        .value_kind:     hidden_global_offset_z
      - .offset:         176
        .size:           2
        .value_kind:     hidden_grid_dims
    .group_segment_fixed_size: 0
    .kernarg_segment_align: 8
    .kernarg_segment_size: 368
    .language:       OpenCL C
    .language_version:
      - 2
      - 0
    .max_flat_workgroup_size: 512
    .name:           _ZL18rocblas_rot_kernelIiLi512E19rocblas_complex_numIfEPKPS1_S4_ffEviT2_lllT3_lllT4_lT5_li
    .private_segment_fixed_size: 0
    .sgpr_count:     24
    .sgpr_spill_count: 0
    .symbol:         _ZL18rocblas_rot_kernelIiLi512E19rocblas_complex_numIfEPKPS1_S4_ffEviT2_lllT3_lllT4_lT5_li.kd
    .uniform_work_group_size: 1
    .uses_dynamic_stack: false
    .vgpr_count:     18
    .vgpr_spill_count: 0
    .wavefront_size: 32
  - .args:
      - .offset:         0
        .size:           4
        .value_kind:     by_value
      - .address_space:  global
        .offset:         8
        .size:           8
        .value_kind:     global_buffer
      - .offset:         16
        .size:           8
        .value_kind:     by_value
      - .offset:         24
        .size:           8
        .value_kind:     by_value
      - .offset:         32
        .size:           8
        .value_kind:     by_value
      - .address_space:  global
        .offset:         40
        .size:           8
        .value_kind:     global_buffer
      - .offset:         48
        .size:           8
        .value_kind:     by_value
      - .offset:         56
        .size:           8
        .value_kind:     by_value
      - .offset:         64
        .size:           8
        .value_kind:     by_value
      - .address_space:  global
        .offset:         72
        .size:           8
        .value_kind:     global_buffer
      - .offset:         80
        .size:           8
        .value_kind:     by_value
      - .address_space:  global
        .offset:         88
        .size:           8
        .value_kind:     global_buffer
      - .offset:         96
        .size:           8
        .value_kind:     by_value
      - .offset:         104
        .size:           4
        .value_kind:     by_value
      - .offset:         112
        .size:           4
        .value_kind:     hidden_block_count_x
      - .offset:         116
        .size:           4
        .value_kind:     hidden_block_count_y
      - .offset:         120
        .size:           4
        .value_kind:     hidden_block_count_z
      - .offset:         124
        .size:           2
        .value_kind:     hidden_group_size_x
      - .offset:         126
        .size:           2
        .value_kind:     hidden_group_size_y
      - .offset:         128
        .size:           2
        .value_kind:     hidden_group_size_z
      - .offset:         130
        .size:           2
        .value_kind:     hidden_remainder_x
      - .offset:         132
        .size:           2
        .value_kind:     hidden_remainder_y
      - .offset:         134
        .size:           2
        .value_kind:     hidden_remainder_z
      - .offset:         152
        .size:           8
        .value_kind:     hidden_global_offset_x
      - .offset:         160
        .size:           8
        .value_kind:     hidden_global_offset_y
      - .offset:         168
        .size:           8
        .value_kind:     hidden_global_offset_z
      - .offset:         176
        .size:           2
        .value_kind:     hidden_grid_dims
    .group_segment_fixed_size: 0
    .kernarg_segment_align: 8
    .kernarg_segment_size: 368
    .language:       OpenCL C
    .language_version:
      - 2
      - 0
    .max_flat_workgroup_size: 512
    .name:           _ZL18rocblas_rot_kernelIiLi512E19rocblas_complex_numIfEPKPS1_S4_PKfPKS1_EviT2_lllT3_lllT4_lT5_li
    .private_segment_fixed_size: 0
    .sgpr_count:     30
    .sgpr_spill_count: 0
    .symbol:         _ZL18rocblas_rot_kernelIiLi512E19rocblas_complex_numIfEPKPS1_S4_PKfPKS1_EviT2_lllT3_lllT4_lT5_li.kd
    .uniform_work_group_size: 1
    .uses_dynamic_stack: false
    .vgpr_count:     24
    .vgpr_spill_count: 0
    .wavefront_size: 32
  - .args:
      - .offset:         0
        .size:           4
        .value_kind:     by_value
      - .address_space:  global
        .offset:         8
        .size:           8
        .value_kind:     global_buffer
      - .offset:         16
        .size:           8
        .value_kind:     by_value
      - .offset:         24
        .size:           8
        .value_kind:     by_value
      - .offset:         32
        .size:           8
        .value_kind:     by_value
      - .address_space:  global
        .offset:         40
        .size:           8
        .value_kind:     global_buffer
      - .offset:         48
        .size:           8
        .value_kind:     by_value
      - .offset:         56
        .size:           8
        .value_kind:     by_value
      - .offset:         64
        .size:           8
        .value_kind:     by_value
      - .offset:         72
        .size:           4
        .value_kind:     by_value
      - .offset:         80
        .size:           8
        .value_kind:     by_value
      - .offset:         88
        .size:           8
        .value_kind:     by_value
      - .offset:         96
        .size:           8
        .value_kind:     by_value
      - .offset:         104
        .size:           4
        .value_kind:     by_value
      - .offset:         112
        .size:           4
        .value_kind:     hidden_block_count_x
      - .offset:         116
        .size:           4
        .value_kind:     hidden_block_count_y
      - .offset:         120
        .size:           4
        .value_kind:     hidden_block_count_z
      - .offset:         124
        .size:           2
        .value_kind:     hidden_group_size_x
      - .offset:         126
        .size:           2
        .value_kind:     hidden_group_size_y
      - .offset:         128
        .size:           2
        .value_kind:     hidden_group_size_z
      - .offset:         130
        .size:           2
        .value_kind:     hidden_remainder_x
      - .offset:         132
        .size:           2
        .value_kind:     hidden_remainder_y
      - .offset:         134
        .size:           2
        .value_kind:     hidden_remainder_z
      - .offset:         152
        .size:           8
        .value_kind:     hidden_global_offset_x
      - .offset:         160
        .size:           8
        .value_kind:     hidden_global_offset_y
      - .offset:         168
        .size:           8
        .value_kind:     hidden_global_offset_z
      - .offset:         176
        .size:           2
        .value_kind:     hidden_grid_dims
    .group_segment_fixed_size: 0
    .kernarg_segment_align: 8
    .kernarg_segment_size: 368
    .language:       OpenCL C
    .language_version:
      - 2
      - 0
    .max_flat_workgroup_size: 512
    .name:           _ZL18rocblas_rot_kernelIiLi512E19rocblas_complex_numIfEPKPS1_S4_fS1_EviT2_lllT3_lllT4_lT5_li
    .private_segment_fixed_size: 0
    .sgpr_count:     28
    .sgpr_spill_count: 0
    .symbol:         _ZL18rocblas_rot_kernelIiLi512E19rocblas_complex_numIfEPKPS1_S4_fS1_EviT2_lllT3_lllT4_lT5_li.kd
    .uniform_work_group_size: 1
    .uses_dynamic_stack: false
    .vgpr_count:     26
    .vgpr_spill_count: 0
    .wavefront_size: 32
  - .args:
      - .offset:         0
        .size:           4
        .value_kind:     by_value
      - .address_space:  global
        .offset:         8
        .size:           8
        .value_kind:     global_buffer
      - .offset:         16
        .size:           8
        .value_kind:     by_value
      - .offset:         24
        .size:           8
        .value_kind:     by_value
      - .offset:         32
        .size:           8
        .value_kind:     by_value
      - .address_space:  global
        .offset:         40
        .size:           8
        .value_kind:     global_buffer
      - .offset:         48
        .size:           8
        .value_kind:     by_value
      - .offset:         56
        .size:           8
        .value_kind:     by_value
      - .offset:         64
        .size:           8
        .value_kind:     by_value
      - .address_space:  global
        .offset:         72
        .size:           8
        .value_kind:     global_buffer
      - .offset:         80
        .size:           8
        .value_kind:     by_value
      - .address_space:  global
        .offset:         88
        .size:           8
        .value_kind:     global_buffer
      - .offset:         96
        .size:           8
        .value_kind:     by_value
      - .offset:         104
        .size:           4
        .value_kind:     by_value
      - .offset:         112
        .size:           4
        .value_kind:     hidden_block_count_x
      - .offset:         116
        .size:           4
        .value_kind:     hidden_block_count_y
      - .offset:         120
        .size:           4
        .value_kind:     hidden_block_count_z
      - .offset:         124
        .size:           2
        .value_kind:     hidden_group_size_x
      - .offset:         126
        .size:           2
        .value_kind:     hidden_group_size_y
      - .offset:         128
        .size:           2
        .value_kind:     hidden_group_size_z
      - .offset:         130
        .size:           2
        .value_kind:     hidden_remainder_x
      - .offset:         132
        .size:           2
        .value_kind:     hidden_remainder_y
      - .offset:         134
        .size:           2
        .value_kind:     hidden_remainder_z
      - .offset:         152
        .size:           8
        .value_kind:     hidden_global_offset_x
      - .offset:         160
        .size:           8
        .value_kind:     hidden_global_offset_y
      - .offset:         168
        .size:           8
        .value_kind:     hidden_global_offset_z
      - .offset:         176
        .size:           2
        .value_kind:     hidden_grid_dims
    .group_segment_fixed_size: 0
    .kernarg_segment_align: 8
    .kernarg_segment_size: 368
    .language:       OpenCL C
    .language_version:
      - 2
      - 0
    .max_flat_workgroup_size: 512
    .name:           _ZL18rocblas_rot_kernelIiLi512E19rocblas_complex_numIfEPKPS1_S4_PKS1_S6_EviT2_lllT3_lllT4_lT5_li
    .private_segment_fixed_size: 0
    .sgpr_count:     30
    .sgpr_spill_count: 0
    .symbol:         _ZL18rocblas_rot_kernelIiLi512E19rocblas_complex_numIfEPKPS1_S4_PKS1_S6_EviT2_lllT3_lllT4_lT5_li.kd
    .uniform_work_group_size: 1
    .uses_dynamic_stack: false
    .vgpr_count:     24
    .vgpr_spill_count: 0
    .wavefront_size: 32
  - .args:
      - .offset:         0
        .size:           4
        .value_kind:     by_value
      - .address_space:  global
        .offset:         8
        .size:           8
        .value_kind:     global_buffer
      - .offset:         16
        .size:           8
        .value_kind:     by_value
      - .offset:         24
        .size:           8
        .value_kind:     by_value
      - .offset:         32
        .size:           8
        .value_kind:     by_value
      - .address_space:  global
        .offset:         40
        .size:           8
        .value_kind:     global_buffer
      - .offset:         48
        .size:           8
        .value_kind:     by_value
      - .offset:         56
        .size:           8
        .value_kind:     by_value
      - .offset:         64
        .size:           8
        .value_kind:     by_value
      - .offset:         72
        .size:           8
        .value_kind:     by_value
      - .offset:         80
        .size:           8
        .value_kind:     by_value
      - .offset:         88
        .size:           8
        .value_kind:     by_value
      - .offset:         96
        .size:           8
        .value_kind:     by_value
      - .offset:         104
        .size:           4
        .value_kind:     by_value
      - .offset:         112
        .size:           4
        .value_kind:     hidden_block_count_x
      - .offset:         116
        .size:           4
        .value_kind:     hidden_block_count_y
      - .offset:         120
        .size:           4
        .value_kind:     hidden_block_count_z
      - .offset:         124
        .size:           2
        .value_kind:     hidden_group_size_x
      - .offset:         126
        .size:           2
        .value_kind:     hidden_group_size_y
      - .offset:         128
        .size:           2
        .value_kind:     hidden_group_size_z
      - .offset:         130
        .size:           2
        .value_kind:     hidden_remainder_x
      - .offset:         132
        .size:           2
        .value_kind:     hidden_remainder_y
      - .offset:         134
        .size:           2
        .value_kind:     hidden_remainder_z
      - .offset:         152
        .size:           8
        .value_kind:     hidden_global_offset_x
      - .offset:         160
        .size:           8
        .value_kind:     hidden_global_offset_y
      - .offset:         168
        .size:           8
        .value_kind:     hidden_global_offset_z
      - .offset:         176
        .size:           2
        .value_kind:     hidden_grid_dims
    .group_segment_fixed_size: 0
    .kernarg_segment_align: 8
    .kernarg_segment_size: 368
    .language:       OpenCL C
    .language_version:
      - 2
      - 0
    .max_flat_workgroup_size: 512
    .name:           _ZL18rocblas_rot_kernelIiLi512E19rocblas_complex_numIfEPKPS1_S4_S1_S1_EviT2_lllT3_lllT4_lT5_li
    .private_segment_fixed_size: 0
    .sgpr_count:     28
    .sgpr_spill_count: 0
    .symbol:         _ZL18rocblas_rot_kernelIiLi512E19rocblas_complex_numIfEPKPS1_S4_S1_S1_EviT2_lllT3_lllT4_lT5_li.kd
    .uniform_work_group_size: 1
    .uses_dynamic_stack: false
    .vgpr_count:     26
    .vgpr_spill_count: 0
    .wavefront_size: 32
  - .args:
      - .offset:         0
        .size:           4
        .value_kind:     by_value
      - .address_space:  global
        .offset:         8
        .size:           8
        .value_kind:     global_buffer
      - .offset:         16
        .size:           8
        .value_kind:     by_value
      - .offset:         24
        .size:           8
        .value_kind:     by_value
      - .offset:         32
        .size:           8
        .value_kind:     by_value
      - .address_space:  global
        .offset:         40
        .size:           8
        .value_kind:     global_buffer
      - .offset:         48
        .size:           8
        .value_kind:     by_value
      - .offset:         56
        .size:           8
        .value_kind:     by_value
      - .offset:         64
        .size:           8
        .value_kind:     by_value
      - .address_space:  global
        .offset:         72
        .size:           8
        .value_kind:     global_buffer
      - .offset:         80
        .size:           8
        .value_kind:     by_value
      - .address_space:  global
        .offset:         88
        .size:           8
        .value_kind:     global_buffer
      - .offset:         96
        .size:           8
        .value_kind:     by_value
      - .offset:         104
        .size:           4
        .value_kind:     by_value
      - .offset:         112
        .size:           4
        .value_kind:     hidden_block_count_x
      - .offset:         116
        .size:           4
        .value_kind:     hidden_block_count_y
      - .offset:         120
        .size:           4
        .value_kind:     hidden_block_count_z
      - .offset:         124
        .size:           2
        .value_kind:     hidden_group_size_x
      - .offset:         126
        .size:           2
        .value_kind:     hidden_group_size_y
      - .offset:         128
        .size:           2
        .value_kind:     hidden_group_size_z
      - .offset:         130
        .size:           2
        .value_kind:     hidden_remainder_x
      - .offset:         132
        .size:           2
        .value_kind:     hidden_remainder_y
      - .offset:         134
        .size:           2
        .value_kind:     hidden_remainder_z
      - .offset:         152
        .size:           8
        .value_kind:     hidden_global_offset_x
      - .offset:         160
        .size:           8
        .value_kind:     hidden_global_offset_y
      - .offset:         168
        .size:           8
        .value_kind:     hidden_global_offset_z
      - .offset:         176
        .size:           2
        .value_kind:     hidden_grid_dims
    .group_segment_fixed_size: 0
    .kernarg_segment_align: 8
    .kernarg_segment_size: 368
    .language:       OpenCL C
    .language_version:
      - 2
      - 0
    .max_flat_workgroup_size: 512
    .name:           _ZL18rocblas_rot_kernelIiLi512E19rocblas_complex_numIdEPKPS1_S4_PKS1_S6_EviT2_lllT3_lllT4_lT5_li
    .private_segment_fixed_size: 0
    .sgpr_count:     30
    .sgpr_spill_count: 0
    .symbol:         _ZL18rocblas_rot_kernelIiLi512E19rocblas_complex_numIdEPKPS1_S4_PKS1_S6_EviT2_lllT3_lllT4_lT5_li.kd
    .uniform_work_group_size: 1
    .uses_dynamic_stack: false
    .vgpr_count:     32
    .vgpr_spill_count: 0
    .wavefront_size: 32
  - .args:
      - .offset:         0
        .size:           4
        .value_kind:     by_value
      - .address_space:  global
        .offset:         8
        .size:           8
        .value_kind:     global_buffer
      - .offset:         16
        .size:           8
        .value_kind:     by_value
      - .offset:         24
        .size:           8
        .value_kind:     by_value
      - .offset:         32
        .size:           8
        .value_kind:     by_value
      - .address_space:  global
        .offset:         40
        .size:           8
        .value_kind:     global_buffer
      - .offset:         48
        .size:           8
        .value_kind:     by_value
      - .offset:         56
        .size:           8
        .value_kind:     by_value
      - .offset:         64
        .size:           8
        .value_kind:     by_value
      - .offset:         72
        .size:           16
        .value_kind:     by_value
      - .offset:         88
        .size:           8
        .value_kind:     by_value
      - .offset:         96
        .size:           16
        .value_kind:     by_value
      - .offset:         112
        .size:           8
        .value_kind:     by_value
      - .offset:         120
        .size:           4
        .value_kind:     by_value
      - .offset:         128
        .size:           4
        .value_kind:     hidden_block_count_x
      - .offset:         132
        .size:           4
        .value_kind:     hidden_block_count_y
      - .offset:         136
        .size:           4
        .value_kind:     hidden_block_count_z
      - .offset:         140
        .size:           2
        .value_kind:     hidden_group_size_x
      - .offset:         142
        .size:           2
        .value_kind:     hidden_group_size_y
      - .offset:         144
        .size:           2
        .value_kind:     hidden_group_size_z
      - .offset:         146
        .size:           2
        .value_kind:     hidden_remainder_x
      - .offset:         148
        .size:           2
        .value_kind:     hidden_remainder_y
      - .offset:         150
        .size:           2
        .value_kind:     hidden_remainder_z
      - .offset:         168
        .size:           8
        .value_kind:     hidden_global_offset_x
      - .offset:         176
        .size:           8
        .value_kind:     hidden_global_offset_y
      - .offset:         184
        .size:           8
        .value_kind:     hidden_global_offset_z
      - .offset:         192
        .size:           2
        .value_kind:     hidden_grid_dims
    .group_segment_fixed_size: 0
    .kernarg_segment_align: 8
    .kernarg_segment_size: 384
    .language:       OpenCL C
    .language_version:
      - 2
      - 0
    .max_flat_workgroup_size: 512
    .name:           _ZL18rocblas_rot_kernelIiLi512E19rocblas_complex_numIdEPKPS1_S4_S1_S1_EviT2_lllT3_lllT4_lT5_li
    .private_segment_fixed_size: 0
    .sgpr_count:     24
    .sgpr_spill_count: 0
    .symbol:         _ZL18rocblas_rot_kernelIiLi512E19rocblas_complex_numIdEPKPS1_S4_S1_S1_EviT2_lllT3_lllT4_lT5_li.kd
    .uniform_work_group_size: 1
    .uses_dynamic_stack: false
    .vgpr_count:     24
    .vgpr_spill_count: 0
    .wavefront_size: 32
  - .args:
      - .offset:         0
        .size:           4
        .value_kind:     by_value
      - .address_space:  global
        .offset:         8
        .size:           8
        .value_kind:     global_buffer
      - .offset:         16
        .size:           8
        .value_kind:     by_value
      - .offset:         24
        .size:           8
        .value_kind:     by_value
      - .offset:         32
        .size:           8
        .value_kind:     by_value
      - .address_space:  global
        .offset:         40
        .size:           8
        .value_kind:     global_buffer
      - .offset:         48
        .size:           8
        .value_kind:     by_value
      - .offset:         56
        .size:           8
        .value_kind:     by_value
      - .offset:         64
        .size:           8
        .value_kind:     by_value
      - .address_space:  global
        .offset:         72
        .size:           8
        .value_kind:     global_buffer
      - .offset:         80
        .size:           8
        .value_kind:     by_value
      - .address_space:  global
        .offset:         88
        .size:           8
        .value_kind:     global_buffer
      - .offset:         96
        .size:           8
        .value_kind:     by_value
      - .offset:         104
        .size:           4
        .value_kind:     by_value
      - .offset:         112
        .size:           4
        .value_kind:     hidden_block_count_x
      - .offset:         116
        .size:           4
        .value_kind:     hidden_block_count_y
      - .offset:         120
        .size:           4
        .value_kind:     hidden_block_count_z
      - .offset:         124
        .size:           2
        .value_kind:     hidden_group_size_x
      - .offset:         126
        .size:           2
        .value_kind:     hidden_group_size_y
      - .offset:         128
        .size:           2
        .value_kind:     hidden_group_size_z
      - .offset:         130
        .size:           2
        .value_kind:     hidden_remainder_x
      - .offset:         132
        .size:           2
        .value_kind:     hidden_remainder_y
      - .offset:         134
        .size:           2
        .value_kind:     hidden_remainder_z
      - .offset:         152
        .size:           8
        .value_kind:     hidden_global_offset_x
      - .offset:         160
        .size:           8
        .value_kind:     hidden_global_offset_y
      - .offset:         168
        .size:           8
        .value_kind:     hidden_global_offset_z
      - .offset:         176
        .size:           2
        .value_kind:     hidden_grid_dims
    .group_segment_fixed_size: 0
    .kernarg_segment_align: 8
    .kernarg_segment_size: 368
    .language:       OpenCL C
    .language_version:
      - 2
      - 0
    .max_flat_workgroup_size: 512
    .name:           _ZL18rocblas_rot_kernelIiLi512E19rocblas_complex_numIdEPKPS1_S4_PKdS6_EviT2_lllT3_lllT4_lT5_li
    .private_segment_fixed_size: 0
    .sgpr_count:     30
    .sgpr_spill_count: 0
    .symbol:         _ZL18rocblas_rot_kernelIiLi512E19rocblas_complex_numIdEPKPS1_S4_PKdS6_EviT2_lllT3_lllT4_lT5_li.kd
    .uniform_work_group_size: 1
    .uses_dynamic_stack: false
    .vgpr_count:     28
    .vgpr_spill_count: 0
    .wavefront_size: 32
  - .args:
      - .offset:         0
        .size:           4
        .value_kind:     by_value
      - .address_space:  global
        .offset:         8
        .size:           8
        .value_kind:     global_buffer
      - .offset:         16
        .size:           8
        .value_kind:     by_value
      - .offset:         24
        .size:           8
        .value_kind:     by_value
      - .offset:         32
        .size:           8
        .value_kind:     by_value
      - .address_space:  global
        .offset:         40
        .size:           8
        .value_kind:     global_buffer
      - .offset:         48
        .size:           8
        .value_kind:     by_value
      - .offset:         56
        .size:           8
        .value_kind:     by_value
      - .offset:         64
        .size:           8
        .value_kind:     by_value
      - .offset:         72
        .size:           8
        .value_kind:     by_value
      - .offset:         80
        .size:           8
        .value_kind:     by_value
      - .offset:         88
        .size:           8
        .value_kind:     by_value
      - .offset:         96
        .size:           8
        .value_kind:     by_value
      - .offset:         104
        .size:           4
        .value_kind:     by_value
      - .offset:         112
        .size:           4
        .value_kind:     hidden_block_count_x
      - .offset:         116
        .size:           4
        .value_kind:     hidden_block_count_y
      - .offset:         120
        .size:           4
        .value_kind:     hidden_block_count_z
      - .offset:         124
        .size:           2
        .value_kind:     hidden_group_size_x
      - .offset:         126
        .size:           2
        .value_kind:     hidden_group_size_y
      - .offset:         128
        .size:           2
        .value_kind:     hidden_group_size_z
      - .offset:         130
        .size:           2
        .value_kind:     hidden_remainder_x
      - .offset:         132
        .size:           2
        .value_kind:     hidden_remainder_y
      - .offset:         134
        .size:           2
        .value_kind:     hidden_remainder_z
      - .offset:         152
        .size:           8
        .value_kind:     hidden_global_offset_x
      - .offset:         160
        .size:           8
        .value_kind:     hidden_global_offset_y
      - .offset:         168
        .size:           8
        .value_kind:     hidden_global_offset_z
      - .offset:         176
        .size:           2
        .value_kind:     hidden_grid_dims
    .group_segment_fixed_size: 0
    .kernarg_segment_align: 8
    .kernarg_segment_size: 368
    .language:       OpenCL C
    .language_version:
      - 2
      - 0
    .max_flat_workgroup_size: 512
    .name:           _ZL18rocblas_rot_kernelIiLi512E19rocblas_complex_numIdEPKPS1_S4_ddEviT2_lllT3_lllT4_lT5_li
    .private_segment_fixed_size: 0
    .sgpr_count:     24
    .sgpr_spill_count: 0
    .symbol:         _ZL18rocblas_rot_kernelIiLi512E19rocblas_complex_numIdEPKPS1_S4_ddEviT2_lllT3_lllT4_lT5_li.kd
    .uniform_work_group_size: 1
    .uses_dynamic_stack: false
    .vgpr_count:     24
    .vgpr_spill_count: 0
    .wavefront_size: 32
  - .args:
      - .offset:         0
        .size:           4
        .value_kind:     by_value
      - .address_space:  global
        .offset:         8
        .size:           8
        .value_kind:     global_buffer
      - .offset:         16
        .size:           8
        .value_kind:     by_value
      - .offset:         24
        .size:           8
        .value_kind:     by_value
      - .offset:         32
        .size:           8
        .value_kind:     by_value
      - .address_space:  global
        .offset:         40
        .size:           8
        .value_kind:     global_buffer
      - .offset:         48
        .size:           8
        .value_kind:     by_value
      - .offset:         56
        .size:           8
        .value_kind:     by_value
      - .offset:         64
        .size:           8
        .value_kind:     by_value
      - .address_space:  global
        .offset:         72
        .size:           8
        .value_kind:     global_buffer
      - .offset:         80
        .size:           8
        .value_kind:     by_value
      - .address_space:  global
        .offset:         88
        .size:           8
        .value_kind:     global_buffer
      - .offset:         96
        .size:           8
        .value_kind:     by_value
      - .offset:         104
        .size:           4
        .value_kind:     by_value
      - .offset:         112
        .size:           4
        .value_kind:     hidden_block_count_x
      - .offset:         116
        .size:           4
        .value_kind:     hidden_block_count_y
      - .offset:         120
        .size:           4
        .value_kind:     hidden_block_count_z
      - .offset:         124
        .size:           2
        .value_kind:     hidden_group_size_x
      - .offset:         126
        .size:           2
        .value_kind:     hidden_group_size_y
      - .offset:         128
        .size:           2
        .value_kind:     hidden_group_size_z
      - .offset:         130
        .size:           2
        .value_kind:     hidden_remainder_x
      - .offset:         132
        .size:           2
        .value_kind:     hidden_remainder_y
      - .offset:         134
        .size:           2
        .value_kind:     hidden_remainder_z
      - .offset:         152
        .size:           8
        .value_kind:     hidden_global_offset_x
      - .offset:         160
        .size:           8
        .value_kind:     hidden_global_offset_y
      - .offset:         168
        .size:           8
        .value_kind:     hidden_global_offset_z
      - .offset:         176
        .size:           2
        .value_kind:     hidden_grid_dims
    .group_segment_fixed_size: 0
    .kernarg_segment_align: 8
    .kernarg_segment_size: 368
    .language:       OpenCL C
    .language_version:
      - 2
      - 0
    .max_flat_workgroup_size: 512
    .name:           _ZL18rocblas_rot_kernelIiLi512E19rocblas_complex_numIdEPKPS1_S4_PKdPKS1_EviT2_lllT3_lllT4_lT5_li
    .private_segment_fixed_size: 0
    .sgpr_count:     30
    .sgpr_spill_count: 0
    .symbol:         _ZL18rocblas_rot_kernelIiLi512E19rocblas_complex_numIdEPKPS1_S4_PKdPKS1_EviT2_lllT3_lllT4_lT5_li.kd
    .uniform_work_group_size: 1
    .uses_dynamic_stack: false
    .vgpr_count:     32
    .vgpr_spill_count: 0
    .wavefront_size: 32
  - .args:
      - .offset:         0
        .size:           4
        .value_kind:     by_value
      - .address_space:  global
        .offset:         8
        .size:           8
        .value_kind:     global_buffer
      - .offset:         16
        .size:           8
        .value_kind:     by_value
      - .offset:         24
        .size:           8
        .value_kind:     by_value
      - .offset:         32
        .size:           8
        .value_kind:     by_value
      - .address_space:  global
        .offset:         40
        .size:           8
        .value_kind:     global_buffer
      - .offset:         48
        .size:           8
        .value_kind:     by_value
      - .offset:         56
        .size:           8
        .value_kind:     by_value
      - .offset:         64
        .size:           8
        .value_kind:     by_value
      - .offset:         72
        .size:           8
        .value_kind:     by_value
      - .offset:         80
        .size:           8
        .value_kind:     by_value
      - .offset:         88
        .size:           16
        .value_kind:     by_value
      - .offset:         104
        .size:           8
        .value_kind:     by_value
      - .offset:         112
        .size:           4
        .value_kind:     by_value
      - .offset:         120
        .size:           4
        .value_kind:     hidden_block_count_x
      - .offset:         124
        .size:           4
        .value_kind:     hidden_block_count_y
      - .offset:         128
        .size:           4
        .value_kind:     hidden_block_count_z
      - .offset:         132
        .size:           2
        .value_kind:     hidden_group_size_x
      - .offset:         134
        .size:           2
        .value_kind:     hidden_group_size_y
      - .offset:         136
        .size:           2
        .value_kind:     hidden_group_size_z
      - .offset:         138
        .size:           2
        .value_kind:     hidden_remainder_x
      - .offset:         140
        .size:           2
        .value_kind:     hidden_remainder_y
      - .offset:         142
        .size:           2
        .value_kind:     hidden_remainder_z
      - .offset:         160
        .size:           8
        .value_kind:     hidden_global_offset_x
      - .offset:         168
        .size:           8
        .value_kind:     hidden_global_offset_y
      - .offset:         176
        .size:           8
        .value_kind:     hidden_global_offset_z
      - .offset:         184
        .size:           2
        .value_kind:     hidden_grid_dims
    .group_segment_fixed_size: 0
    .kernarg_segment_align: 8
    .kernarg_segment_size: 376
    .language:       OpenCL C
    .language_version:
      - 2
      - 0
    .max_flat_workgroup_size: 512
    .name:           _ZL18rocblas_rot_kernelIiLi512E19rocblas_complex_numIdEPKPS1_S4_dS1_EviT2_lllT3_lllT4_lT5_li
    .private_segment_fixed_size: 0
    .sgpr_count:     24
    .sgpr_spill_count: 0
    .symbol:         _ZL18rocblas_rot_kernelIiLi512E19rocblas_complex_numIdEPKPS1_S4_dS1_EviT2_lllT3_lllT4_lT5_li.kd
    .uniform_work_group_size: 1
    .uses_dynamic_stack: false
    .vgpr_count:     24
    .vgpr_spill_count: 0
    .wavefront_size: 32
amdhsa.target:   amdgcn-amd-amdhsa--gfx1250
amdhsa.version:
  - 1
  - 2
...

	.end_amdgpu_metadata
